;; amdgpu-corpus repo=ROCm/hipCUB kind=compiled arch=gfx1250 opt=O3
	.amdgcn_target "amdgcn-amd-amdhsa--gfx1250"
	.amdhsa_code_object_version 6
	.text
	.protected	_Z14warp_id_kernelPj    ; -- Begin function _Z14warp_id_kernelPj
	.globl	_Z14warp_id_kernelPj
	.p2align	8
	.type	_Z14warp_id_kernelPj,@function
_Z14warp_id_kernelPj:                   ; @_Z14warp_id_kernelPj
; %bb.0:
	s_clause 0x1
	s_load_b32 s4, s[0:1], 0x14
	s_load_b64 s[2:3], s[0:1], 0x0
	v_bfe_u32 v1, v0, 10, 10
	v_bfe_u32 v2, v0, 20, 10
	s_wait_xcnt 0x0
	s_bfe_u32 s1, ttmp6, 0x4000c
	v_and_b32_e32 v0, 0x3ff, v0
	s_add_co_i32 s1, s1, 1
	s_and_b32 s0, ttmp6, 15
	s_mul_i32 s1, ttmp9, s1
	s_delay_alu instid0(SALU_CYCLE_1)
	s_add_co_i32 s0, s0, s1
	s_getreg_b32 s1, hwreg(HW_REG_IB_STS2, 6, 4)
	s_wait_kmcnt 0x0
	s_lshr_b32 s5, s4, 16
	s_and_b32 s4, s4, 0xffff
	v_mad_u32_u24 v1, v2, s5, v1
	s_cmp_eq_u32 s1, 0
	s_cselect_b32 s0, ttmp9, s0
	s_delay_alu instid0(VALU_DEP_1) | instskip(SKIP_1) | instid1(VALU_DEP_2)
	v_mad_u32 v1, v1, s4, v0
	v_mad_u32 v0, s0, s4, v0
	v_lshrrev_b32_e32 v1, 6, v1
	global_store_b32 v0, v1, s[2:3] scale_offset
	s_endpgm
	.section	.rodata,"a",@progbits
	.p2align	6, 0x0
	.amdhsa_kernel _Z14warp_id_kernelPj
		.amdhsa_group_segment_fixed_size 0
		.amdhsa_private_segment_fixed_size 0
		.amdhsa_kernarg_size 264
		.amdhsa_user_sgpr_count 2
		.amdhsa_user_sgpr_dispatch_ptr 0
		.amdhsa_user_sgpr_queue_ptr 0
		.amdhsa_user_sgpr_kernarg_segment_ptr 1
		.amdhsa_user_sgpr_dispatch_id 0
		.amdhsa_user_sgpr_kernarg_preload_length 0
		.amdhsa_user_sgpr_kernarg_preload_offset 0
		.amdhsa_user_sgpr_private_segment_size 0
		.amdhsa_wavefront_size32 1
		.amdhsa_uses_dynamic_stack 0
		.amdhsa_enable_private_segment 0
		.amdhsa_system_sgpr_workgroup_id_x 1
		.amdhsa_system_sgpr_workgroup_id_y 0
		.amdhsa_system_sgpr_workgroup_id_z 0
		.amdhsa_system_sgpr_workgroup_info 0
		.amdhsa_system_vgpr_workitem_id 2
		.amdhsa_next_free_vgpr 3
		.amdhsa_next_free_sgpr 6
		.amdhsa_named_barrier_count 0
		.amdhsa_reserve_vcc 0
		.amdhsa_float_round_mode_32 0
		.amdhsa_float_round_mode_16_64 0
		.amdhsa_float_denorm_mode_32 3
		.amdhsa_float_denorm_mode_16_64 3
		.amdhsa_fp16_overflow 0
		.amdhsa_memory_ordered 1
		.amdhsa_forward_progress 1
		.amdhsa_inst_pref_size 2
		.amdhsa_round_robin_scheduling 0
		.amdhsa_exception_fp_ieee_invalid_op 0
		.amdhsa_exception_fp_denorm_src 0
		.amdhsa_exception_fp_ieee_div_zero 0
		.amdhsa_exception_fp_ieee_overflow 0
		.amdhsa_exception_fp_ieee_underflow 0
		.amdhsa_exception_fp_ieee_inexact 0
		.amdhsa_exception_int_div_zero 0
	.end_amdhsa_kernel
	.text
.Lfunc_end0:
	.size	_Z14warp_id_kernelPj, .Lfunc_end0-_Z14warp_id_kernelPj
                                        ; -- End function
	.set _Z14warp_id_kernelPj.num_vgpr, 3
	.set _Z14warp_id_kernelPj.num_agpr, 0
	.set _Z14warp_id_kernelPj.numbered_sgpr, 6
	.set _Z14warp_id_kernelPj.num_named_barrier, 0
	.set _Z14warp_id_kernelPj.private_seg_size, 0
	.set _Z14warp_id_kernelPj.uses_vcc, 0
	.set _Z14warp_id_kernelPj.uses_flat_scratch, 0
	.set _Z14warp_id_kernelPj.has_dyn_sized_stack, 0
	.set _Z14warp_id_kernelPj.has_recursion, 0
	.set _Z14warp_id_kernelPj.has_indirect_call, 0
	.section	.AMDGPU.csdata,"",@progbits
; Kernel info:
; codeLenInByte = 152
; TotalNumSgprs: 6
; NumVgprs: 3
; ScratchSize: 0
; MemoryBound: 0
; FloatMode: 240
; IeeeMode: 1
; LDSByteSize: 0 bytes/workgroup (compile time only)
; SGPRBlocks: 0
; VGPRBlocks: 0
; NumSGPRsForWavesPerEU: 6
; NumVGPRsForWavesPerEU: 3
; NamedBarCnt: 0
; Occupancy: 16
; WaveLimiterHint : 0
; COMPUTE_PGM_RSRC2:SCRATCH_EN: 0
; COMPUTE_PGM_RSRC2:USER_SGPR: 2
; COMPUTE_PGM_RSRC2:TRAP_HANDLER: 0
; COMPUTE_PGM_RSRC2:TGID_X_EN: 1
; COMPUTE_PGM_RSRC2:TGID_Y_EN: 0
; COMPUTE_PGM_RSRC2:TGID_Z_EN: 0
; COMPUTE_PGM_RSRC2:TIDIG_COMP_CNT: 2
	.section	.text._Z17shuffle_up_kernelILj64E12hip_bfloat16EvPT0_j,"axG",@progbits,_Z17shuffle_up_kernelILj64E12hip_bfloat16EvPT0_j,comdat
	.protected	_Z17shuffle_up_kernelILj64E12hip_bfloat16EvPT0_j ; -- Begin function _Z17shuffle_up_kernelILj64E12hip_bfloat16EvPT0_j
	.globl	_Z17shuffle_up_kernelILj64E12hip_bfloat16EvPT0_j
	.p2align	8
	.type	_Z17shuffle_up_kernelILj64E12hip_bfloat16EvPT0_j,@function
_Z17shuffle_up_kernelILj64E12hip_bfloat16EvPT0_j: ; @_Z17shuffle_up_kernelILj64E12hip_bfloat16EvPT0_j
; %bb.0:
	s_clause 0x1
	s_load_b32 s2, s[0:1], 0x1c
	s_load_b96 s[4:6], s[0:1], 0x0
	s_wait_xcnt 0x0
	s_bfe_u32 s0, ttmp6, 0x4000c
	s_and_b32 s1, ttmp6, 15
	s_add_co_i32 s0, s0, 1
	s_getreg_b32 s3, hwreg(HW_REG_IB_STS2, 6, 4)
	s_mul_i32 s0, ttmp9, s0
	v_mbcnt_lo_u32_b32 v2, -1, 0
	s_add_co_i32 s1, s1, s0
	s_wait_kmcnt 0x0
	s_and_b32 s2, s2, 0xffff
	s_cmp_eq_u32 s3, 0
	v_subrev_nc_u32_e32 v3, s6, v2
	s_cselect_b32 s0, ttmp9, s1
	s_delay_alu instid0(SALU_CYCLE_1) | instskip(NEXT) | instid1(VALU_DEP_2)
	v_mad_u32 v0, s0, s2, v0
	v_cmp_gt_i32_e32 vcc_lo, 0, v3
	v_cndmask_b32_e32 v2, v3, v2, vcc_lo
	global_load_u16 v1, v0, s[4:5] scale_offset
	v_lshlrev_b32_e32 v2, 2, v2
	s_wait_loadcnt 0x0
	ds_bpermute_b32 v1, v2, v1
	s_wait_dscnt 0x0
	global_store_b16 v0, v1, s[4:5] scale_offset
	s_endpgm
	.section	.rodata,"a",@progbits
	.p2align	6, 0x0
	.amdhsa_kernel _Z17shuffle_up_kernelILj64E12hip_bfloat16EvPT0_j
		.amdhsa_group_segment_fixed_size 0
		.amdhsa_private_segment_fixed_size 0
		.amdhsa_kernarg_size 272
		.amdhsa_user_sgpr_count 2
		.amdhsa_user_sgpr_dispatch_ptr 0
		.amdhsa_user_sgpr_queue_ptr 0
		.amdhsa_user_sgpr_kernarg_segment_ptr 1
		.amdhsa_user_sgpr_dispatch_id 0
		.amdhsa_user_sgpr_kernarg_preload_length 0
		.amdhsa_user_sgpr_kernarg_preload_offset 0
		.amdhsa_user_sgpr_private_segment_size 0
		.amdhsa_wavefront_size32 1
		.amdhsa_uses_dynamic_stack 0
		.amdhsa_enable_private_segment 0
		.amdhsa_system_sgpr_workgroup_id_x 1
		.amdhsa_system_sgpr_workgroup_id_y 0
		.amdhsa_system_sgpr_workgroup_id_z 0
		.amdhsa_system_sgpr_workgroup_info 0
		.amdhsa_system_vgpr_workitem_id 0
		.amdhsa_next_free_vgpr 4
		.amdhsa_next_free_sgpr 7
		.amdhsa_named_barrier_count 0
		.amdhsa_reserve_vcc 1
		.amdhsa_float_round_mode_32 0
		.amdhsa_float_round_mode_16_64 0
		.amdhsa_float_denorm_mode_32 3
		.amdhsa_float_denorm_mode_16_64 3
		.amdhsa_fp16_overflow 0
		.amdhsa_memory_ordered 1
		.amdhsa_forward_progress 1
		.amdhsa_inst_pref_size 2
		.amdhsa_round_robin_scheduling 0
		.amdhsa_exception_fp_ieee_invalid_op 0
		.amdhsa_exception_fp_denorm_src 0
		.amdhsa_exception_fp_ieee_div_zero 0
		.amdhsa_exception_fp_ieee_overflow 0
		.amdhsa_exception_fp_ieee_underflow 0
		.amdhsa_exception_fp_ieee_inexact 0
		.amdhsa_exception_int_div_zero 0
	.end_amdhsa_kernel
	.section	.text._Z17shuffle_up_kernelILj64E12hip_bfloat16EvPT0_j,"axG",@progbits,_Z17shuffle_up_kernelILj64E12hip_bfloat16EvPT0_j,comdat
.Lfunc_end1:
	.size	_Z17shuffle_up_kernelILj64E12hip_bfloat16EvPT0_j, .Lfunc_end1-_Z17shuffle_up_kernelILj64E12hip_bfloat16EvPT0_j
                                        ; -- End function
	.set _Z17shuffle_up_kernelILj64E12hip_bfloat16EvPT0_j.num_vgpr, 4
	.set _Z17shuffle_up_kernelILj64E12hip_bfloat16EvPT0_j.num_agpr, 0
	.set _Z17shuffle_up_kernelILj64E12hip_bfloat16EvPT0_j.numbered_sgpr, 7
	.set _Z17shuffle_up_kernelILj64E12hip_bfloat16EvPT0_j.num_named_barrier, 0
	.set _Z17shuffle_up_kernelILj64E12hip_bfloat16EvPT0_j.private_seg_size, 0
	.set _Z17shuffle_up_kernelILj64E12hip_bfloat16EvPT0_j.uses_vcc, 1
	.set _Z17shuffle_up_kernelILj64E12hip_bfloat16EvPT0_j.uses_flat_scratch, 0
	.set _Z17shuffle_up_kernelILj64E12hip_bfloat16EvPT0_j.has_dyn_sized_stack, 0
	.set _Z17shuffle_up_kernelILj64E12hip_bfloat16EvPT0_j.has_recursion, 0
	.set _Z17shuffle_up_kernelILj64E12hip_bfloat16EvPT0_j.has_indirect_call, 0
	.section	.AMDGPU.csdata,"",@progbits
; Kernel info:
; codeLenInByte = 152
; TotalNumSgprs: 9
; NumVgprs: 4
; ScratchSize: 0
; MemoryBound: 0
; FloatMode: 240
; IeeeMode: 1
; LDSByteSize: 0 bytes/workgroup (compile time only)
; SGPRBlocks: 0
; VGPRBlocks: 0
; NumSGPRsForWavesPerEU: 9
; NumVGPRsForWavesPerEU: 4
; NamedBarCnt: 0
; Occupancy: 16
; WaveLimiterHint : 0
; COMPUTE_PGM_RSRC2:SCRATCH_EN: 0
; COMPUTE_PGM_RSRC2:USER_SGPR: 2
; COMPUTE_PGM_RSRC2:TRAP_HANDLER: 0
; COMPUTE_PGM_RSRC2:TGID_X_EN: 1
; COMPUTE_PGM_RSRC2:TGID_Y_EN: 0
; COMPUTE_PGM_RSRC2:TGID_Z_EN: 0
; COMPUTE_PGM_RSRC2:TIDIG_COMP_CNT: 0
	.section	.text._Z17shuffle_up_kernelILj64E6__halfEvPT0_j,"axG",@progbits,_Z17shuffle_up_kernelILj64E6__halfEvPT0_j,comdat
	.protected	_Z17shuffle_up_kernelILj64E6__halfEvPT0_j ; -- Begin function _Z17shuffle_up_kernelILj64E6__halfEvPT0_j
	.globl	_Z17shuffle_up_kernelILj64E6__halfEvPT0_j
	.p2align	8
	.type	_Z17shuffle_up_kernelILj64E6__halfEvPT0_j,@function
_Z17shuffle_up_kernelILj64E6__halfEvPT0_j: ; @_Z17shuffle_up_kernelILj64E6__halfEvPT0_j
; %bb.0:
	s_clause 0x1
	s_load_b32 s2, s[0:1], 0x1c
	s_load_b96 s[4:6], s[0:1], 0x0
	s_wait_xcnt 0x0
	s_bfe_u32 s0, ttmp6, 0x4000c
	s_and_b32 s1, ttmp6, 15
	s_add_co_i32 s0, s0, 1
	s_getreg_b32 s3, hwreg(HW_REG_IB_STS2, 6, 4)
	s_mul_i32 s0, ttmp9, s0
	v_mbcnt_lo_u32_b32 v2, -1, 0
	s_add_co_i32 s1, s1, s0
	s_wait_kmcnt 0x0
	s_and_b32 s2, s2, 0xffff
	s_cmp_eq_u32 s3, 0
	v_subrev_nc_u32_e32 v3, s6, v2
	s_cselect_b32 s0, ttmp9, s1
	s_delay_alu instid0(SALU_CYCLE_1) | instskip(NEXT) | instid1(VALU_DEP_2)
	v_mad_u32 v0, s0, s2, v0
	v_cmp_gt_i32_e32 vcc_lo, 0, v3
	v_cndmask_b32_e32 v2, v3, v2, vcc_lo
	global_load_u16 v1, v0, s[4:5] scale_offset
	v_lshlrev_b32_e32 v2, 2, v2
	s_wait_loadcnt 0x0
	ds_bpermute_b32 v1, v2, v1
	s_wait_dscnt 0x0
	global_store_b16 v0, v1, s[4:5] scale_offset
	s_endpgm
	.section	.rodata,"a",@progbits
	.p2align	6, 0x0
	.amdhsa_kernel _Z17shuffle_up_kernelILj64E6__halfEvPT0_j
		.amdhsa_group_segment_fixed_size 0
		.amdhsa_private_segment_fixed_size 0
		.amdhsa_kernarg_size 272
		.amdhsa_user_sgpr_count 2
		.amdhsa_user_sgpr_dispatch_ptr 0
		.amdhsa_user_sgpr_queue_ptr 0
		.amdhsa_user_sgpr_kernarg_segment_ptr 1
		.amdhsa_user_sgpr_dispatch_id 0
		.amdhsa_user_sgpr_kernarg_preload_length 0
		.amdhsa_user_sgpr_kernarg_preload_offset 0
		.amdhsa_user_sgpr_private_segment_size 0
		.amdhsa_wavefront_size32 1
		.amdhsa_uses_dynamic_stack 0
		.amdhsa_enable_private_segment 0
		.amdhsa_system_sgpr_workgroup_id_x 1
		.amdhsa_system_sgpr_workgroup_id_y 0
		.amdhsa_system_sgpr_workgroup_id_z 0
		.amdhsa_system_sgpr_workgroup_info 0
		.amdhsa_system_vgpr_workitem_id 0
		.amdhsa_next_free_vgpr 4
		.amdhsa_next_free_sgpr 7
		.amdhsa_named_barrier_count 0
		.amdhsa_reserve_vcc 1
		.amdhsa_float_round_mode_32 0
		.amdhsa_float_round_mode_16_64 0
		.amdhsa_float_denorm_mode_32 3
		.amdhsa_float_denorm_mode_16_64 3
		.amdhsa_fp16_overflow 0
		.amdhsa_memory_ordered 1
		.amdhsa_forward_progress 1
		.amdhsa_inst_pref_size 2
		.amdhsa_round_robin_scheduling 0
		.amdhsa_exception_fp_ieee_invalid_op 0
		.amdhsa_exception_fp_denorm_src 0
		.amdhsa_exception_fp_ieee_div_zero 0
		.amdhsa_exception_fp_ieee_overflow 0
		.amdhsa_exception_fp_ieee_underflow 0
		.amdhsa_exception_fp_ieee_inexact 0
		.amdhsa_exception_int_div_zero 0
	.end_amdhsa_kernel
	.section	.text._Z17shuffle_up_kernelILj64E6__halfEvPT0_j,"axG",@progbits,_Z17shuffle_up_kernelILj64E6__halfEvPT0_j,comdat
.Lfunc_end2:
	.size	_Z17shuffle_up_kernelILj64E6__halfEvPT0_j, .Lfunc_end2-_Z17shuffle_up_kernelILj64E6__halfEvPT0_j
                                        ; -- End function
	.set _Z17shuffle_up_kernelILj64E6__halfEvPT0_j.num_vgpr, 4
	.set _Z17shuffle_up_kernelILj64E6__halfEvPT0_j.num_agpr, 0
	.set _Z17shuffle_up_kernelILj64E6__halfEvPT0_j.numbered_sgpr, 7
	.set _Z17shuffle_up_kernelILj64E6__halfEvPT0_j.num_named_barrier, 0
	.set _Z17shuffle_up_kernelILj64E6__halfEvPT0_j.private_seg_size, 0
	.set _Z17shuffle_up_kernelILj64E6__halfEvPT0_j.uses_vcc, 1
	.set _Z17shuffle_up_kernelILj64E6__halfEvPT0_j.uses_flat_scratch, 0
	.set _Z17shuffle_up_kernelILj64E6__halfEvPT0_j.has_dyn_sized_stack, 0
	.set _Z17shuffle_up_kernelILj64E6__halfEvPT0_j.has_recursion, 0
	.set _Z17shuffle_up_kernelILj64E6__halfEvPT0_j.has_indirect_call, 0
	.section	.AMDGPU.csdata,"",@progbits
; Kernel info:
; codeLenInByte = 152
; TotalNumSgprs: 9
; NumVgprs: 4
; ScratchSize: 0
; MemoryBound: 0
; FloatMode: 240
; IeeeMode: 1
; LDSByteSize: 0 bytes/workgroup (compile time only)
; SGPRBlocks: 0
; VGPRBlocks: 0
; NumSGPRsForWavesPerEU: 9
; NumVGPRsForWavesPerEU: 4
; NamedBarCnt: 0
; Occupancy: 16
; WaveLimiterHint : 0
; COMPUTE_PGM_RSRC2:SCRATCH_EN: 0
; COMPUTE_PGM_RSRC2:USER_SGPR: 2
; COMPUTE_PGM_RSRC2:TRAP_HANDLER: 0
; COMPUTE_PGM_RSRC2:TGID_X_EN: 1
; COMPUTE_PGM_RSRC2:TGID_Y_EN: 0
; COMPUTE_PGM_RSRC2:TGID_Z_EN: 0
; COMPUTE_PGM_RSRC2:TIDIG_COMP_CNT: 0
	.section	.text._Z17shuffle_up_kernelILj64EhEvPT0_j,"axG",@progbits,_Z17shuffle_up_kernelILj64EhEvPT0_j,comdat
	.protected	_Z17shuffle_up_kernelILj64EhEvPT0_j ; -- Begin function _Z17shuffle_up_kernelILj64EhEvPT0_j
	.globl	_Z17shuffle_up_kernelILj64EhEvPT0_j
	.p2align	8
	.type	_Z17shuffle_up_kernelILj64EhEvPT0_j,@function
_Z17shuffle_up_kernelILj64EhEvPT0_j:    ; @_Z17shuffle_up_kernelILj64EhEvPT0_j
; %bb.0:
	s_clause 0x1
	s_load_b32 s2, s[0:1], 0x1c
	s_load_b96 s[4:6], s[0:1], 0x0
	s_wait_xcnt 0x0
	s_bfe_u32 s0, ttmp6, 0x4000c
	s_and_b32 s1, ttmp6, 15
	s_add_co_i32 s0, s0, 1
	s_getreg_b32 s3, hwreg(HW_REG_IB_STS2, 6, 4)
	s_mul_i32 s0, ttmp9, s0
	v_mbcnt_lo_u32_b32 v2, -1, 0
	s_add_co_i32 s1, s1, s0
	s_wait_kmcnt 0x0
	s_and_b32 s2, s2, 0xffff
	s_cmp_eq_u32 s3, 0
	v_subrev_nc_u32_e32 v3, s6, v2
	s_cselect_b32 s0, ttmp9, s1
	s_delay_alu instid0(SALU_CYCLE_1) | instskip(NEXT) | instid1(VALU_DEP_2)
	v_mad_u32 v0, s0, s2, v0
	v_cmp_gt_i32_e32 vcc_lo, 0, v3
	v_cndmask_b32_e32 v2, v3, v2, vcc_lo
	global_load_u8 v1, v0, s[4:5]
	v_lshlrev_b32_e32 v2, 2, v2
	s_wait_loadcnt 0x0
	ds_bpermute_b32 v1, v2, v1
	s_wait_dscnt 0x0
	global_store_b8 v0, v1, s[4:5]
	s_endpgm
	.section	.rodata,"a",@progbits
	.p2align	6, 0x0
	.amdhsa_kernel _Z17shuffle_up_kernelILj64EhEvPT0_j
		.amdhsa_group_segment_fixed_size 0
		.amdhsa_private_segment_fixed_size 0
		.amdhsa_kernarg_size 272
		.amdhsa_user_sgpr_count 2
		.amdhsa_user_sgpr_dispatch_ptr 0
		.amdhsa_user_sgpr_queue_ptr 0
		.amdhsa_user_sgpr_kernarg_segment_ptr 1
		.amdhsa_user_sgpr_dispatch_id 0
		.amdhsa_user_sgpr_kernarg_preload_length 0
		.amdhsa_user_sgpr_kernarg_preload_offset 0
		.amdhsa_user_sgpr_private_segment_size 0
		.amdhsa_wavefront_size32 1
		.amdhsa_uses_dynamic_stack 0
		.amdhsa_enable_private_segment 0
		.amdhsa_system_sgpr_workgroup_id_x 1
		.amdhsa_system_sgpr_workgroup_id_y 0
		.amdhsa_system_sgpr_workgroup_id_z 0
		.amdhsa_system_sgpr_workgroup_info 0
		.amdhsa_system_vgpr_workitem_id 0
		.amdhsa_next_free_vgpr 4
		.amdhsa_next_free_sgpr 7
		.amdhsa_named_barrier_count 0
		.amdhsa_reserve_vcc 1
		.amdhsa_float_round_mode_32 0
		.amdhsa_float_round_mode_16_64 0
		.amdhsa_float_denorm_mode_32 3
		.amdhsa_float_denorm_mode_16_64 3
		.amdhsa_fp16_overflow 0
		.amdhsa_memory_ordered 1
		.amdhsa_forward_progress 1
		.amdhsa_inst_pref_size 2
		.amdhsa_round_robin_scheduling 0
		.amdhsa_exception_fp_ieee_invalid_op 0
		.amdhsa_exception_fp_denorm_src 0
		.amdhsa_exception_fp_ieee_div_zero 0
		.amdhsa_exception_fp_ieee_overflow 0
		.amdhsa_exception_fp_ieee_underflow 0
		.amdhsa_exception_fp_ieee_inexact 0
		.amdhsa_exception_int_div_zero 0
	.end_amdhsa_kernel
	.section	.text._Z17shuffle_up_kernelILj64EhEvPT0_j,"axG",@progbits,_Z17shuffle_up_kernelILj64EhEvPT0_j,comdat
.Lfunc_end3:
	.size	_Z17shuffle_up_kernelILj64EhEvPT0_j, .Lfunc_end3-_Z17shuffle_up_kernelILj64EhEvPT0_j
                                        ; -- End function
	.set _Z17shuffle_up_kernelILj64EhEvPT0_j.num_vgpr, 4
	.set _Z17shuffle_up_kernelILj64EhEvPT0_j.num_agpr, 0
	.set _Z17shuffle_up_kernelILj64EhEvPT0_j.numbered_sgpr, 7
	.set _Z17shuffle_up_kernelILj64EhEvPT0_j.num_named_barrier, 0
	.set _Z17shuffle_up_kernelILj64EhEvPT0_j.private_seg_size, 0
	.set _Z17shuffle_up_kernelILj64EhEvPT0_j.uses_vcc, 1
	.set _Z17shuffle_up_kernelILj64EhEvPT0_j.uses_flat_scratch, 0
	.set _Z17shuffle_up_kernelILj64EhEvPT0_j.has_dyn_sized_stack, 0
	.set _Z17shuffle_up_kernelILj64EhEvPT0_j.has_recursion, 0
	.set _Z17shuffle_up_kernelILj64EhEvPT0_j.has_indirect_call, 0
	.section	.AMDGPU.csdata,"",@progbits
; Kernel info:
; codeLenInByte = 152
; TotalNumSgprs: 9
; NumVgprs: 4
; ScratchSize: 0
; MemoryBound: 0
; FloatMode: 240
; IeeeMode: 1
; LDSByteSize: 0 bytes/workgroup (compile time only)
; SGPRBlocks: 0
; VGPRBlocks: 0
; NumSGPRsForWavesPerEU: 9
; NumVGPRsForWavesPerEU: 4
; NamedBarCnt: 0
; Occupancy: 16
; WaveLimiterHint : 0
; COMPUTE_PGM_RSRC2:SCRATCH_EN: 0
; COMPUTE_PGM_RSRC2:USER_SGPR: 2
; COMPUTE_PGM_RSRC2:TRAP_HANDLER: 0
; COMPUTE_PGM_RSRC2:TGID_X_EN: 1
; COMPUTE_PGM_RSRC2:TGID_Y_EN: 0
; COMPUTE_PGM_RSRC2:TGID_Z_EN: 0
; COMPUTE_PGM_RSRC2:TIDIG_COMP_CNT: 0
	.section	.text._Z17shuffle_up_kernelILj64EdEvPT0_j,"axG",@progbits,_Z17shuffle_up_kernelILj64EdEvPT0_j,comdat
	.protected	_Z17shuffle_up_kernelILj64EdEvPT0_j ; -- Begin function _Z17shuffle_up_kernelILj64EdEvPT0_j
	.globl	_Z17shuffle_up_kernelILj64EdEvPT0_j
	.p2align	8
	.type	_Z17shuffle_up_kernelILj64EdEvPT0_j,@function
_Z17shuffle_up_kernelILj64EdEvPT0_j:    ; @_Z17shuffle_up_kernelILj64EdEvPT0_j
; %bb.0:
	s_load_b32 s3, s[0:1], 0x1c
	s_bfe_u32 s4, ttmp6, 0x4000c
	s_wait_xcnt 0x0
	s_load_b96 s[0:2], s[0:1], 0x0
	s_add_co_i32 s4, s4, 1
	s_and_b32 s5, ttmp6, 15
	s_mul_i32 s4, ttmp9, s4
	s_getreg_b32 s6, hwreg(HW_REG_IB_STS2, 6, 4)
	s_add_co_i32 s5, s5, s4
	v_mbcnt_lo_u32_b32 v3, -1, 0
	s_wait_kmcnt 0x0
	s_and_b32 s3, s3, 0xffff
	s_cmp_eq_u32 s6, 0
	s_delay_alu instid0(VALU_DEP_1) | instskip(SKIP_1) | instid1(SALU_CYCLE_1)
	v_subrev_nc_u32_e32 v4, s2, v3
	s_cselect_b32 s4, ttmp9, s5
	v_mad_u32 v2, s4, s3, v0
	s_delay_alu instid0(VALU_DEP_2)
	v_cmp_gt_i32_e32 vcc_lo, 0, v4
	v_cndmask_b32_e32 v3, v4, v3, vcc_lo
	global_load_b64 v[0:1], v2, s[0:1] scale_offset
	v_lshlrev_b32_e32 v3, 2, v3
	s_wait_loadcnt 0x0
	ds_bpermute_b32 v0, v3, v0
	ds_bpermute_b32 v1, v3, v1
	s_wait_dscnt 0x0
	global_store_b64 v2, v[0:1], s[0:1] scale_offset
	s_endpgm
	.section	.rodata,"a",@progbits
	.p2align	6, 0x0
	.amdhsa_kernel _Z17shuffle_up_kernelILj64EdEvPT0_j
		.amdhsa_group_segment_fixed_size 0
		.amdhsa_private_segment_fixed_size 0
		.amdhsa_kernarg_size 272
		.amdhsa_user_sgpr_count 2
		.amdhsa_user_sgpr_dispatch_ptr 0
		.amdhsa_user_sgpr_queue_ptr 0
		.amdhsa_user_sgpr_kernarg_segment_ptr 1
		.amdhsa_user_sgpr_dispatch_id 0
		.amdhsa_user_sgpr_kernarg_preload_length 0
		.amdhsa_user_sgpr_kernarg_preload_offset 0
		.amdhsa_user_sgpr_private_segment_size 0
		.amdhsa_wavefront_size32 1
		.amdhsa_uses_dynamic_stack 0
		.amdhsa_enable_private_segment 0
		.amdhsa_system_sgpr_workgroup_id_x 1
		.amdhsa_system_sgpr_workgroup_id_y 0
		.amdhsa_system_sgpr_workgroup_id_z 0
		.amdhsa_system_sgpr_workgroup_info 0
		.amdhsa_system_vgpr_workitem_id 0
		.amdhsa_next_free_vgpr 5
		.amdhsa_next_free_sgpr 7
		.amdhsa_named_barrier_count 0
		.amdhsa_reserve_vcc 1
		.amdhsa_float_round_mode_32 0
		.amdhsa_float_round_mode_16_64 0
		.amdhsa_float_denorm_mode_32 3
		.amdhsa_float_denorm_mode_16_64 3
		.amdhsa_fp16_overflow 0
		.amdhsa_memory_ordered 1
		.amdhsa_forward_progress 1
		.amdhsa_inst_pref_size 2
		.amdhsa_round_robin_scheduling 0
		.amdhsa_exception_fp_ieee_invalid_op 0
		.amdhsa_exception_fp_denorm_src 0
		.amdhsa_exception_fp_ieee_div_zero 0
		.amdhsa_exception_fp_ieee_overflow 0
		.amdhsa_exception_fp_ieee_underflow 0
		.amdhsa_exception_fp_ieee_inexact 0
		.amdhsa_exception_int_div_zero 0
	.end_amdhsa_kernel
	.section	.text._Z17shuffle_up_kernelILj64EdEvPT0_j,"axG",@progbits,_Z17shuffle_up_kernelILj64EdEvPT0_j,comdat
.Lfunc_end4:
	.size	_Z17shuffle_up_kernelILj64EdEvPT0_j, .Lfunc_end4-_Z17shuffle_up_kernelILj64EdEvPT0_j
                                        ; -- End function
	.set _Z17shuffle_up_kernelILj64EdEvPT0_j.num_vgpr, 5
	.set _Z17shuffle_up_kernelILj64EdEvPT0_j.num_agpr, 0
	.set _Z17shuffle_up_kernelILj64EdEvPT0_j.numbered_sgpr, 7
	.set _Z17shuffle_up_kernelILj64EdEvPT0_j.num_named_barrier, 0
	.set _Z17shuffle_up_kernelILj64EdEvPT0_j.private_seg_size, 0
	.set _Z17shuffle_up_kernelILj64EdEvPT0_j.uses_vcc, 1
	.set _Z17shuffle_up_kernelILj64EdEvPT0_j.uses_flat_scratch, 0
	.set _Z17shuffle_up_kernelILj64EdEvPT0_j.has_dyn_sized_stack, 0
	.set _Z17shuffle_up_kernelILj64EdEvPT0_j.has_recursion, 0
	.set _Z17shuffle_up_kernelILj64EdEvPT0_j.has_indirect_call, 0
	.section	.AMDGPU.csdata,"",@progbits
; Kernel info:
; codeLenInByte = 160
; TotalNumSgprs: 9
; NumVgprs: 5
; ScratchSize: 0
; MemoryBound: 0
; FloatMode: 240
; IeeeMode: 1
; LDSByteSize: 0 bytes/workgroup (compile time only)
; SGPRBlocks: 0
; VGPRBlocks: 0
; NumSGPRsForWavesPerEU: 9
; NumVGPRsForWavesPerEU: 5
; NamedBarCnt: 0
; Occupancy: 16
; WaveLimiterHint : 0
; COMPUTE_PGM_RSRC2:SCRATCH_EN: 0
; COMPUTE_PGM_RSRC2:USER_SGPR: 2
; COMPUTE_PGM_RSRC2:TRAP_HANDLER: 0
; COMPUTE_PGM_RSRC2:TGID_X_EN: 1
; COMPUTE_PGM_RSRC2:TGID_Y_EN: 0
; COMPUTE_PGM_RSRC2:TGID_Z_EN: 0
; COMPUTE_PGM_RSRC2:TIDIG_COMP_CNT: 0
	.section	.text._Z17shuffle_up_kernelILj64EfEvPT0_j,"axG",@progbits,_Z17shuffle_up_kernelILj64EfEvPT0_j,comdat
	.protected	_Z17shuffle_up_kernelILj64EfEvPT0_j ; -- Begin function _Z17shuffle_up_kernelILj64EfEvPT0_j
	.globl	_Z17shuffle_up_kernelILj64EfEvPT0_j
	.p2align	8
	.type	_Z17shuffle_up_kernelILj64EfEvPT0_j,@function
_Z17shuffle_up_kernelILj64EfEvPT0_j:    ; @_Z17shuffle_up_kernelILj64EfEvPT0_j
; %bb.0:
	s_clause 0x1
	s_load_b32 s2, s[0:1], 0x1c
	s_load_b96 s[4:6], s[0:1], 0x0
	s_wait_xcnt 0x0
	s_bfe_u32 s0, ttmp6, 0x4000c
	s_and_b32 s1, ttmp6, 15
	s_add_co_i32 s0, s0, 1
	s_getreg_b32 s3, hwreg(HW_REG_IB_STS2, 6, 4)
	s_mul_i32 s0, ttmp9, s0
	v_mbcnt_lo_u32_b32 v2, -1, 0
	s_add_co_i32 s1, s1, s0
	s_wait_kmcnt 0x0
	s_and_b32 s2, s2, 0xffff
	s_cmp_eq_u32 s3, 0
	v_subrev_nc_u32_e32 v3, s6, v2
	s_cselect_b32 s0, ttmp9, s1
	s_delay_alu instid0(SALU_CYCLE_1) | instskip(NEXT) | instid1(VALU_DEP_2)
	v_mad_u32 v0, s0, s2, v0
	v_cmp_gt_i32_e32 vcc_lo, 0, v3
	v_cndmask_b32_e32 v2, v3, v2, vcc_lo
	global_load_b32 v1, v0, s[4:5] scale_offset
	v_lshlrev_b32_e32 v2, 2, v2
	s_wait_loadcnt 0x0
	ds_bpermute_b32 v1, v2, v1
	s_wait_dscnt 0x0
	global_store_b32 v0, v1, s[4:5] scale_offset
	s_endpgm
	.section	.rodata,"a",@progbits
	.p2align	6, 0x0
	.amdhsa_kernel _Z17shuffle_up_kernelILj64EfEvPT0_j
		.amdhsa_group_segment_fixed_size 0
		.amdhsa_private_segment_fixed_size 0
		.amdhsa_kernarg_size 272
		.amdhsa_user_sgpr_count 2
		.amdhsa_user_sgpr_dispatch_ptr 0
		.amdhsa_user_sgpr_queue_ptr 0
		.amdhsa_user_sgpr_kernarg_segment_ptr 1
		.amdhsa_user_sgpr_dispatch_id 0
		.amdhsa_user_sgpr_kernarg_preload_length 0
		.amdhsa_user_sgpr_kernarg_preload_offset 0
		.amdhsa_user_sgpr_private_segment_size 0
		.amdhsa_wavefront_size32 1
		.amdhsa_uses_dynamic_stack 0
		.amdhsa_enable_private_segment 0
		.amdhsa_system_sgpr_workgroup_id_x 1
		.amdhsa_system_sgpr_workgroup_id_y 0
		.amdhsa_system_sgpr_workgroup_id_z 0
		.amdhsa_system_sgpr_workgroup_info 0
		.amdhsa_system_vgpr_workitem_id 0
		.amdhsa_next_free_vgpr 4
		.amdhsa_next_free_sgpr 7
		.amdhsa_named_barrier_count 0
		.amdhsa_reserve_vcc 1
		.amdhsa_float_round_mode_32 0
		.amdhsa_float_round_mode_16_64 0
		.amdhsa_float_denorm_mode_32 3
		.amdhsa_float_denorm_mode_16_64 3
		.amdhsa_fp16_overflow 0
		.amdhsa_memory_ordered 1
		.amdhsa_forward_progress 1
		.amdhsa_inst_pref_size 2
		.amdhsa_round_robin_scheduling 0
		.amdhsa_exception_fp_ieee_invalid_op 0
		.amdhsa_exception_fp_denorm_src 0
		.amdhsa_exception_fp_ieee_div_zero 0
		.amdhsa_exception_fp_ieee_overflow 0
		.amdhsa_exception_fp_ieee_underflow 0
		.amdhsa_exception_fp_ieee_inexact 0
		.amdhsa_exception_int_div_zero 0
	.end_amdhsa_kernel
	.section	.text._Z17shuffle_up_kernelILj64EfEvPT0_j,"axG",@progbits,_Z17shuffle_up_kernelILj64EfEvPT0_j,comdat
.Lfunc_end5:
	.size	_Z17shuffle_up_kernelILj64EfEvPT0_j, .Lfunc_end5-_Z17shuffle_up_kernelILj64EfEvPT0_j
                                        ; -- End function
	.set _Z17shuffle_up_kernelILj64EfEvPT0_j.num_vgpr, 4
	.set _Z17shuffle_up_kernelILj64EfEvPT0_j.num_agpr, 0
	.set _Z17shuffle_up_kernelILj64EfEvPT0_j.numbered_sgpr, 7
	.set _Z17shuffle_up_kernelILj64EfEvPT0_j.num_named_barrier, 0
	.set _Z17shuffle_up_kernelILj64EfEvPT0_j.private_seg_size, 0
	.set _Z17shuffle_up_kernelILj64EfEvPT0_j.uses_vcc, 1
	.set _Z17shuffle_up_kernelILj64EfEvPT0_j.uses_flat_scratch, 0
	.set _Z17shuffle_up_kernelILj64EfEvPT0_j.has_dyn_sized_stack, 0
	.set _Z17shuffle_up_kernelILj64EfEvPT0_j.has_recursion, 0
	.set _Z17shuffle_up_kernelILj64EfEvPT0_j.has_indirect_call, 0
	.section	.AMDGPU.csdata,"",@progbits
; Kernel info:
; codeLenInByte = 152
; TotalNumSgprs: 9
; NumVgprs: 4
; ScratchSize: 0
; MemoryBound: 0
; FloatMode: 240
; IeeeMode: 1
; LDSByteSize: 0 bytes/workgroup (compile time only)
; SGPRBlocks: 0
; VGPRBlocks: 0
; NumSGPRsForWavesPerEU: 9
; NumVGPRsForWavesPerEU: 4
; NamedBarCnt: 0
; Occupancy: 16
; WaveLimiterHint : 0
; COMPUTE_PGM_RSRC2:SCRATCH_EN: 0
; COMPUTE_PGM_RSRC2:USER_SGPR: 2
; COMPUTE_PGM_RSRC2:TRAP_HANDLER: 0
; COMPUTE_PGM_RSRC2:TGID_X_EN: 1
; COMPUTE_PGM_RSRC2:TGID_Y_EN: 0
; COMPUTE_PGM_RSRC2:TGID_Z_EN: 0
; COMPUTE_PGM_RSRC2:TIDIG_COMP_CNT: 0
	.section	.text._Z17shuffle_up_kernelILj32EhEvPT0_j,"axG",@progbits,_Z17shuffle_up_kernelILj32EhEvPT0_j,comdat
	.protected	_Z17shuffle_up_kernelILj32EhEvPT0_j ; -- Begin function _Z17shuffle_up_kernelILj32EhEvPT0_j
	.globl	_Z17shuffle_up_kernelILj32EhEvPT0_j
	.p2align	8
	.type	_Z17shuffle_up_kernelILj32EhEvPT0_j,@function
_Z17shuffle_up_kernelILj32EhEvPT0_j:    ; @_Z17shuffle_up_kernelILj32EhEvPT0_j
; %bb.0:
	s_clause 0x1
	s_load_b32 s2, s[0:1], 0x1c
	s_load_b96 s[4:6], s[0:1], 0x0
	s_wait_xcnt 0x0
	s_bfe_u32 s0, ttmp6, 0x4000c
	s_and_b32 s1, ttmp6, 15
	s_add_co_i32 s0, s0, 1
	s_getreg_b32 s3, hwreg(HW_REG_IB_STS2, 6, 4)
	s_mul_i32 s0, ttmp9, s0
	v_mbcnt_lo_u32_b32 v2, -1, 0
	s_add_co_i32 s1, s1, s0
	s_wait_kmcnt 0x0
	s_and_b32 s2, s2, 0xffff
	s_cmp_eq_u32 s3, 0
	v_subrev_nc_u32_e32 v3, s6, v2
	s_cselect_b32 s0, ttmp9, s1
	s_delay_alu instid0(SALU_CYCLE_1) | instskip(NEXT) | instid1(VALU_DEP_2)
	v_mad_u32 v0, s0, s2, v0
	v_cmp_gt_i32_e32 vcc_lo, 0, v3
	v_cndmask_b32_e32 v2, v3, v2, vcc_lo
	global_load_u8 v1, v0, s[4:5]
	v_lshlrev_b32_e32 v2, 2, v2
	s_wait_loadcnt 0x0
	ds_bpermute_b32 v1, v2, v1
	s_wait_dscnt 0x0
	global_store_b8 v0, v1, s[4:5]
	s_endpgm
	.section	.rodata,"a",@progbits
	.p2align	6, 0x0
	.amdhsa_kernel _Z17shuffle_up_kernelILj32EhEvPT0_j
		.amdhsa_group_segment_fixed_size 0
		.amdhsa_private_segment_fixed_size 0
		.amdhsa_kernarg_size 272
		.amdhsa_user_sgpr_count 2
		.amdhsa_user_sgpr_dispatch_ptr 0
		.amdhsa_user_sgpr_queue_ptr 0
		.amdhsa_user_sgpr_kernarg_segment_ptr 1
		.amdhsa_user_sgpr_dispatch_id 0
		.amdhsa_user_sgpr_kernarg_preload_length 0
		.amdhsa_user_sgpr_kernarg_preload_offset 0
		.amdhsa_user_sgpr_private_segment_size 0
		.amdhsa_wavefront_size32 1
		.amdhsa_uses_dynamic_stack 0
		.amdhsa_enable_private_segment 0
		.amdhsa_system_sgpr_workgroup_id_x 1
		.amdhsa_system_sgpr_workgroup_id_y 0
		.amdhsa_system_sgpr_workgroup_id_z 0
		.amdhsa_system_sgpr_workgroup_info 0
		.amdhsa_system_vgpr_workitem_id 0
		.amdhsa_next_free_vgpr 4
		.amdhsa_next_free_sgpr 7
		.amdhsa_named_barrier_count 0
		.amdhsa_reserve_vcc 1
		.amdhsa_float_round_mode_32 0
		.amdhsa_float_round_mode_16_64 0
		.amdhsa_float_denorm_mode_32 3
		.amdhsa_float_denorm_mode_16_64 3
		.amdhsa_fp16_overflow 0
		.amdhsa_memory_ordered 1
		.amdhsa_forward_progress 1
		.amdhsa_inst_pref_size 2
		.amdhsa_round_robin_scheduling 0
		.amdhsa_exception_fp_ieee_invalid_op 0
		.amdhsa_exception_fp_denorm_src 0
		.amdhsa_exception_fp_ieee_div_zero 0
		.amdhsa_exception_fp_ieee_overflow 0
		.amdhsa_exception_fp_ieee_underflow 0
		.amdhsa_exception_fp_ieee_inexact 0
		.amdhsa_exception_int_div_zero 0
	.end_amdhsa_kernel
	.section	.text._Z17shuffle_up_kernelILj32EhEvPT0_j,"axG",@progbits,_Z17shuffle_up_kernelILj32EhEvPT0_j,comdat
.Lfunc_end6:
	.size	_Z17shuffle_up_kernelILj32EhEvPT0_j, .Lfunc_end6-_Z17shuffle_up_kernelILj32EhEvPT0_j
                                        ; -- End function
	.set _Z17shuffle_up_kernelILj32EhEvPT0_j.num_vgpr, 4
	.set _Z17shuffle_up_kernelILj32EhEvPT0_j.num_agpr, 0
	.set _Z17shuffle_up_kernelILj32EhEvPT0_j.numbered_sgpr, 7
	.set _Z17shuffle_up_kernelILj32EhEvPT0_j.num_named_barrier, 0
	.set _Z17shuffle_up_kernelILj32EhEvPT0_j.private_seg_size, 0
	.set _Z17shuffle_up_kernelILj32EhEvPT0_j.uses_vcc, 1
	.set _Z17shuffle_up_kernelILj32EhEvPT0_j.uses_flat_scratch, 0
	.set _Z17shuffle_up_kernelILj32EhEvPT0_j.has_dyn_sized_stack, 0
	.set _Z17shuffle_up_kernelILj32EhEvPT0_j.has_recursion, 0
	.set _Z17shuffle_up_kernelILj32EhEvPT0_j.has_indirect_call, 0
	.section	.AMDGPU.csdata,"",@progbits
; Kernel info:
; codeLenInByte = 152
; TotalNumSgprs: 9
; NumVgprs: 4
; ScratchSize: 0
; MemoryBound: 0
; FloatMode: 240
; IeeeMode: 1
; LDSByteSize: 0 bytes/workgroup (compile time only)
; SGPRBlocks: 0
; VGPRBlocks: 0
; NumSGPRsForWavesPerEU: 9
; NumVGPRsForWavesPerEU: 4
; NamedBarCnt: 0
; Occupancy: 16
; WaveLimiterHint : 0
; COMPUTE_PGM_RSRC2:SCRATCH_EN: 0
; COMPUTE_PGM_RSRC2:USER_SGPR: 2
; COMPUTE_PGM_RSRC2:TRAP_HANDLER: 0
; COMPUTE_PGM_RSRC2:TGID_X_EN: 1
; COMPUTE_PGM_RSRC2:TGID_Y_EN: 0
; COMPUTE_PGM_RSRC2:TGID_Z_EN: 0
; COMPUTE_PGM_RSRC2:TIDIG_COMP_CNT: 0
	.section	.text._Z17shuffle_up_kernelILj32E12hip_bfloat16EvPT0_j,"axG",@progbits,_Z17shuffle_up_kernelILj32E12hip_bfloat16EvPT0_j,comdat
	.protected	_Z17shuffle_up_kernelILj32E12hip_bfloat16EvPT0_j ; -- Begin function _Z17shuffle_up_kernelILj32E12hip_bfloat16EvPT0_j
	.globl	_Z17shuffle_up_kernelILj32E12hip_bfloat16EvPT0_j
	.p2align	8
	.type	_Z17shuffle_up_kernelILj32E12hip_bfloat16EvPT0_j,@function
_Z17shuffle_up_kernelILj32E12hip_bfloat16EvPT0_j: ; @_Z17shuffle_up_kernelILj32E12hip_bfloat16EvPT0_j
; %bb.0:
	s_clause 0x1
	s_load_b32 s2, s[0:1], 0x1c
	s_load_b96 s[4:6], s[0:1], 0x0
	s_wait_xcnt 0x0
	s_bfe_u32 s0, ttmp6, 0x4000c
	s_and_b32 s1, ttmp6, 15
	s_add_co_i32 s0, s0, 1
	s_getreg_b32 s3, hwreg(HW_REG_IB_STS2, 6, 4)
	s_mul_i32 s0, ttmp9, s0
	v_mbcnt_lo_u32_b32 v2, -1, 0
	s_add_co_i32 s1, s1, s0
	s_wait_kmcnt 0x0
	s_and_b32 s2, s2, 0xffff
	s_cmp_eq_u32 s3, 0
	v_subrev_nc_u32_e32 v3, s6, v2
	s_cselect_b32 s0, ttmp9, s1
	s_delay_alu instid0(SALU_CYCLE_1) | instskip(NEXT) | instid1(VALU_DEP_2)
	v_mad_u32 v0, s0, s2, v0
	v_cmp_gt_i32_e32 vcc_lo, 0, v3
	v_cndmask_b32_e32 v2, v3, v2, vcc_lo
	global_load_u16 v1, v0, s[4:5] scale_offset
	v_lshlrev_b32_e32 v2, 2, v2
	s_wait_loadcnt 0x0
	ds_bpermute_b32 v1, v2, v1
	s_wait_dscnt 0x0
	global_store_b16 v0, v1, s[4:5] scale_offset
	s_endpgm
	.section	.rodata,"a",@progbits
	.p2align	6, 0x0
	.amdhsa_kernel _Z17shuffle_up_kernelILj32E12hip_bfloat16EvPT0_j
		.amdhsa_group_segment_fixed_size 0
		.amdhsa_private_segment_fixed_size 0
		.amdhsa_kernarg_size 272
		.amdhsa_user_sgpr_count 2
		.amdhsa_user_sgpr_dispatch_ptr 0
		.amdhsa_user_sgpr_queue_ptr 0
		.amdhsa_user_sgpr_kernarg_segment_ptr 1
		.amdhsa_user_sgpr_dispatch_id 0
		.amdhsa_user_sgpr_kernarg_preload_length 0
		.amdhsa_user_sgpr_kernarg_preload_offset 0
		.amdhsa_user_sgpr_private_segment_size 0
		.amdhsa_wavefront_size32 1
		.amdhsa_uses_dynamic_stack 0
		.amdhsa_enable_private_segment 0
		.amdhsa_system_sgpr_workgroup_id_x 1
		.amdhsa_system_sgpr_workgroup_id_y 0
		.amdhsa_system_sgpr_workgroup_id_z 0
		.amdhsa_system_sgpr_workgroup_info 0
		.amdhsa_system_vgpr_workitem_id 0
		.amdhsa_next_free_vgpr 4
		.amdhsa_next_free_sgpr 7
		.amdhsa_named_barrier_count 0
		.amdhsa_reserve_vcc 1
		.amdhsa_float_round_mode_32 0
		.amdhsa_float_round_mode_16_64 0
		.amdhsa_float_denorm_mode_32 3
		.amdhsa_float_denorm_mode_16_64 3
		.amdhsa_fp16_overflow 0
		.amdhsa_memory_ordered 1
		.amdhsa_forward_progress 1
		.amdhsa_inst_pref_size 2
		.amdhsa_round_robin_scheduling 0
		.amdhsa_exception_fp_ieee_invalid_op 0
		.amdhsa_exception_fp_denorm_src 0
		.amdhsa_exception_fp_ieee_div_zero 0
		.amdhsa_exception_fp_ieee_overflow 0
		.amdhsa_exception_fp_ieee_underflow 0
		.amdhsa_exception_fp_ieee_inexact 0
		.amdhsa_exception_int_div_zero 0
	.end_amdhsa_kernel
	.section	.text._Z17shuffle_up_kernelILj32E12hip_bfloat16EvPT0_j,"axG",@progbits,_Z17shuffle_up_kernelILj32E12hip_bfloat16EvPT0_j,comdat
.Lfunc_end7:
	.size	_Z17shuffle_up_kernelILj32E12hip_bfloat16EvPT0_j, .Lfunc_end7-_Z17shuffle_up_kernelILj32E12hip_bfloat16EvPT0_j
                                        ; -- End function
	.set _Z17shuffle_up_kernelILj32E12hip_bfloat16EvPT0_j.num_vgpr, 4
	.set _Z17shuffle_up_kernelILj32E12hip_bfloat16EvPT0_j.num_agpr, 0
	.set _Z17shuffle_up_kernelILj32E12hip_bfloat16EvPT0_j.numbered_sgpr, 7
	.set _Z17shuffle_up_kernelILj32E12hip_bfloat16EvPT0_j.num_named_barrier, 0
	.set _Z17shuffle_up_kernelILj32E12hip_bfloat16EvPT0_j.private_seg_size, 0
	.set _Z17shuffle_up_kernelILj32E12hip_bfloat16EvPT0_j.uses_vcc, 1
	.set _Z17shuffle_up_kernelILj32E12hip_bfloat16EvPT0_j.uses_flat_scratch, 0
	.set _Z17shuffle_up_kernelILj32E12hip_bfloat16EvPT0_j.has_dyn_sized_stack, 0
	.set _Z17shuffle_up_kernelILj32E12hip_bfloat16EvPT0_j.has_recursion, 0
	.set _Z17shuffle_up_kernelILj32E12hip_bfloat16EvPT0_j.has_indirect_call, 0
	.section	.AMDGPU.csdata,"",@progbits
; Kernel info:
; codeLenInByte = 152
; TotalNumSgprs: 9
; NumVgprs: 4
; ScratchSize: 0
; MemoryBound: 0
; FloatMode: 240
; IeeeMode: 1
; LDSByteSize: 0 bytes/workgroup (compile time only)
; SGPRBlocks: 0
; VGPRBlocks: 0
; NumSGPRsForWavesPerEU: 9
; NumVGPRsForWavesPerEU: 4
; NamedBarCnt: 0
; Occupancy: 16
; WaveLimiterHint : 0
; COMPUTE_PGM_RSRC2:SCRATCH_EN: 0
; COMPUTE_PGM_RSRC2:USER_SGPR: 2
; COMPUTE_PGM_RSRC2:TRAP_HANDLER: 0
; COMPUTE_PGM_RSRC2:TGID_X_EN: 1
; COMPUTE_PGM_RSRC2:TGID_Y_EN: 0
; COMPUTE_PGM_RSRC2:TGID_Z_EN: 0
; COMPUTE_PGM_RSRC2:TIDIG_COMP_CNT: 0
	.section	.text._Z17shuffle_up_kernelILj32E6__halfEvPT0_j,"axG",@progbits,_Z17shuffle_up_kernelILj32E6__halfEvPT0_j,comdat
	.protected	_Z17shuffle_up_kernelILj32E6__halfEvPT0_j ; -- Begin function _Z17shuffle_up_kernelILj32E6__halfEvPT0_j
	.globl	_Z17shuffle_up_kernelILj32E6__halfEvPT0_j
	.p2align	8
	.type	_Z17shuffle_up_kernelILj32E6__halfEvPT0_j,@function
_Z17shuffle_up_kernelILj32E6__halfEvPT0_j: ; @_Z17shuffle_up_kernelILj32E6__halfEvPT0_j
; %bb.0:
	s_clause 0x1
	s_load_b32 s2, s[0:1], 0x1c
	s_load_b96 s[4:6], s[0:1], 0x0
	s_wait_xcnt 0x0
	s_bfe_u32 s0, ttmp6, 0x4000c
	s_and_b32 s1, ttmp6, 15
	s_add_co_i32 s0, s0, 1
	s_getreg_b32 s3, hwreg(HW_REG_IB_STS2, 6, 4)
	s_mul_i32 s0, ttmp9, s0
	v_mbcnt_lo_u32_b32 v2, -1, 0
	s_add_co_i32 s1, s1, s0
	s_wait_kmcnt 0x0
	s_and_b32 s2, s2, 0xffff
	s_cmp_eq_u32 s3, 0
	v_subrev_nc_u32_e32 v3, s6, v2
	s_cselect_b32 s0, ttmp9, s1
	s_delay_alu instid0(SALU_CYCLE_1) | instskip(NEXT) | instid1(VALU_DEP_2)
	v_mad_u32 v0, s0, s2, v0
	v_cmp_gt_i32_e32 vcc_lo, 0, v3
	v_cndmask_b32_e32 v2, v3, v2, vcc_lo
	global_load_u16 v1, v0, s[4:5] scale_offset
	v_lshlrev_b32_e32 v2, 2, v2
	s_wait_loadcnt 0x0
	ds_bpermute_b32 v1, v2, v1
	s_wait_dscnt 0x0
	global_store_b16 v0, v1, s[4:5] scale_offset
	s_endpgm
	.section	.rodata,"a",@progbits
	.p2align	6, 0x0
	.amdhsa_kernel _Z17shuffle_up_kernelILj32E6__halfEvPT0_j
		.amdhsa_group_segment_fixed_size 0
		.amdhsa_private_segment_fixed_size 0
		.amdhsa_kernarg_size 272
		.amdhsa_user_sgpr_count 2
		.amdhsa_user_sgpr_dispatch_ptr 0
		.amdhsa_user_sgpr_queue_ptr 0
		.amdhsa_user_sgpr_kernarg_segment_ptr 1
		.amdhsa_user_sgpr_dispatch_id 0
		.amdhsa_user_sgpr_kernarg_preload_length 0
		.amdhsa_user_sgpr_kernarg_preload_offset 0
		.amdhsa_user_sgpr_private_segment_size 0
		.amdhsa_wavefront_size32 1
		.amdhsa_uses_dynamic_stack 0
		.amdhsa_enable_private_segment 0
		.amdhsa_system_sgpr_workgroup_id_x 1
		.amdhsa_system_sgpr_workgroup_id_y 0
		.amdhsa_system_sgpr_workgroup_id_z 0
		.amdhsa_system_sgpr_workgroup_info 0
		.amdhsa_system_vgpr_workitem_id 0
		.amdhsa_next_free_vgpr 4
		.amdhsa_next_free_sgpr 7
		.amdhsa_named_barrier_count 0
		.amdhsa_reserve_vcc 1
		.amdhsa_float_round_mode_32 0
		.amdhsa_float_round_mode_16_64 0
		.amdhsa_float_denorm_mode_32 3
		.amdhsa_float_denorm_mode_16_64 3
		.amdhsa_fp16_overflow 0
		.amdhsa_memory_ordered 1
		.amdhsa_forward_progress 1
		.amdhsa_inst_pref_size 2
		.amdhsa_round_robin_scheduling 0
		.amdhsa_exception_fp_ieee_invalid_op 0
		.amdhsa_exception_fp_denorm_src 0
		.amdhsa_exception_fp_ieee_div_zero 0
		.amdhsa_exception_fp_ieee_overflow 0
		.amdhsa_exception_fp_ieee_underflow 0
		.amdhsa_exception_fp_ieee_inexact 0
		.amdhsa_exception_int_div_zero 0
	.end_amdhsa_kernel
	.section	.text._Z17shuffle_up_kernelILj32E6__halfEvPT0_j,"axG",@progbits,_Z17shuffle_up_kernelILj32E6__halfEvPT0_j,comdat
.Lfunc_end8:
	.size	_Z17shuffle_up_kernelILj32E6__halfEvPT0_j, .Lfunc_end8-_Z17shuffle_up_kernelILj32E6__halfEvPT0_j
                                        ; -- End function
	.set _Z17shuffle_up_kernelILj32E6__halfEvPT0_j.num_vgpr, 4
	.set _Z17shuffle_up_kernelILj32E6__halfEvPT0_j.num_agpr, 0
	.set _Z17shuffle_up_kernelILj32E6__halfEvPT0_j.numbered_sgpr, 7
	.set _Z17shuffle_up_kernelILj32E6__halfEvPT0_j.num_named_barrier, 0
	.set _Z17shuffle_up_kernelILj32E6__halfEvPT0_j.private_seg_size, 0
	.set _Z17shuffle_up_kernelILj32E6__halfEvPT0_j.uses_vcc, 1
	.set _Z17shuffle_up_kernelILj32E6__halfEvPT0_j.uses_flat_scratch, 0
	.set _Z17shuffle_up_kernelILj32E6__halfEvPT0_j.has_dyn_sized_stack, 0
	.set _Z17shuffle_up_kernelILj32E6__halfEvPT0_j.has_recursion, 0
	.set _Z17shuffle_up_kernelILj32E6__halfEvPT0_j.has_indirect_call, 0
	.section	.AMDGPU.csdata,"",@progbits
; Kernel info:
; codeLenInByte = 152
; TotalNumSgprs: 9
; NumVgprs: 4
; ScratchSize: 0
; MemoryBound: 0
; FloatMode: 240
; IeeeMode: 1
; LDSByteSize: 0 bytes/workgroup (compile time only)
; SGPRBlocks: 0
; VGPRBlocks: 0
; NumSGPRsForWavesPerEU: 9
; NumVGPRsForWavesPerEU: 4
; NamedBarCnt: 0
; Occupancy: 16
; WaveLimiterHint : 0
; COMPUTE_PGM_RSRC2:SCRATCH_EN: 0
; COMPUTE_PGM_RSRC2:USER_SGPR: 2
; COMPUTE_PGM_RSRC2:TRAP_HANDLER: 0
; COMPUTE_PGM_RSRC2:TGID_X_EN: 1
; COMPUTE_PGM_RSRC2:TGID_Y_EN: 0
; COMPUTE_PGM_RSRC2:TGID_Z_EN: 0
; COMPUTE_PGM_RSRC2:TIDIG_COMP_CNT: 0
	.section	.text._Z17shuffle_up_kernelILj32EdEvPT0_j,"axG",@progbits,_Z17shuffle_up_kernelILj32EdEvPT0_j,comdat
	.protected	_Z17shuffle_up_kernelILj32EdEvPT0_j ; -- Begin function _Z17shuffle_up_kernelILj32EdEvPT0_j
	.globl	_Z17shuffle_up_kernelILj32EdEvPT0_j
	.p2align	8
	.type	_Z17shuffle_up_kernelILj32EdEvPT0_j,@function
_Z17shuffle_up_kernelILj32EdEvPT0_j:    ; @_Z17shuffle_up_kernelILj32EdEvPT0_j
; %bb.0:
	s_load_b32 s3, s[0:1], 0x1c
	s_bfe_u32 s4, ttmp6, 0x4000c
	s_wait_xcnt 0x0
	s_load_b96 s[0:2], s[0:1], 0x0
	s_add_co_i32 s4, s4, 1
	s_and_b32 s5, ttmp6, 15
	s_mul_i32 s4, ttmp9, s4
	s_getreg_b32 s6, hwreg(HW_REG_IB_STS2, 6, 4)
	s_add_co_i32 s5, s5, s4
	v_mbcnt_lo_u32_b32 v3, -1, 0
	s_wait_kmcnt 0x0
	s_and_b32 s3, s3, 0xffff
	s_cmp_eq_u32 s6, 0
	s_delay_alu instid0(VALU_DEP_1) | instskip(SKIP_1) | instid1(SALU_CYCLE_1)
	v_subrev_nc_u32_e32 v4, s2, v3
	s_cselect_b32 s4, ttmp9, s5
	v_mad_u32 v2, s4, s3, v0
	s_delay_alu instid0(VALU_DEP_2)
	v_cmp_gt_i32_e32 vcc_lo, 0, v4
	v_cndmask_b32_e32 v3, v4, v3, vcc_lo
	global_load_b64 v[0:1], v2, s[0:1] scale_offset
	v_lshlrev_b32_e32 v3, 2, v3
	s_wait_loadcnt 0x0
	ds_bpermute_b32 v0, v3, v0
	ds_bpermute_b32 v1, v3, v1
	s_wait_dscnt 0x0
	global_store_b64 v2, v[0:1], s[0:1] scale_offset
	s_endpgm
	.section	.rodata,"a",@progbits
	.p2align	6, 0x0
	.amdhsa_kernel _Z17shuffle_up_kernelILj32EdEvPT0_j
		.amdhsa_group_segment_fixed_size 0
		.amdhsa_private_segment_fixed_size 0
		.amdhsa_kernarg_size 272
		.amdhsa_user_sgpr_count 2
		.amdhsa_user_sgpr_dispatch_ptr 0
		.amdhsa_user_sgpr_queue_ptr 0
		.amdhsa_user_sgpr_kernarg_segment_ptr 1
		.amdhsa_user_sgpr_dispatch_id 0
		.amdhsa_user_sgpr_kernarg_preload_length 0
		.amdhsa_user_sgpr_kernarg_preload_offset 0
		.amdhsa_user_sgpr_private_segment_size 0
		.amdhsa_wavefront_size32 1
		.amdhsa_uses_dynamic_stack 0
		.amdhsa_enable_private_segment 0
		.amdhsa_system_sgpr_workgroup_id_x 1
		.amdhsa_system_sgpr_workgroup_id_y 0
		.amdhsa_system_sgpr_workgroup_id_z 0
		.amdhsa_system_sgpr_workgroup_info 0
		.amdhsa_system_vgpr_workitem_id 0
		.amdhsa_next_free_vgpr 5
		.amdhsa_next_free_sgpr 7
		.amdhsa_named_barrier_count 0
		.amdhsa_reserve_vcc 1
		.amdhsa_float_round_mode_32 0
		.amdhsa_float_round_mode_16_64 0
		.amdhsa_float_denorm_mode_32 3
		.amdhsa_float_denorm_mode_16_64 3
		.amdhsa_fp16_overflow 0
		.amdhsa_memory_ordered 1
		.amdhsa_forward_progress 1
		.amdhsa_inst_pref_size 2
		.amdhsa_round_robin_scheduling 0
		.amdhsa_exception_fp_ieee_invalid_op 0
		.amdhsa_exception_fp_denorm_src 0
		.amdhsa_exception_fp_ieee_div_zero 0
		.amdhsa_exception_fp_ieee_overflow 0
		.amdhsa_exception_fp_ieee_underflow 0
		.amdhsa_exception_fp_ieee_inexact 0
		.amdhsa_exception_int_div_zero 0
	.end_amdhsa_kernel
	.section	.text._Z17shuffle_up_kernelILj32EdEvPT0_j,"axG",@progbits,_Z17shuffle_up_kernelILj32EdEvPT0_j,comdat
.Lfunc_end9:
	.size	_Z17shuffle_up_kernelILj32EdEvPT0_j, .Lfunc_end9-_Z17shuffle_up_kernelILj32EdEvPT0_j
                                        ; -- End function
	.set _Z17shuffle_up_kernelILj32EdEvPT0_j.num_vgpr, 5
	.set _Z17shuffle_up_kernelILj32EdEvPT0_j.num_agpr, 0
	.set _Z17shuffle_up_kernelILj32EdEvPT0_j.numbered_sgpr, 7
	.set _Z17shuffle_up_kernelILj32EdEvPT0_j.num_named_barrier, 0
	.set _Z17shuffle_up_kernelILj32EdEvPT0_j.private_seg_size, 0
	.set _Z17shuffle_up_kernelILj32EdEvPT0_j.uses_vcc, 1
	.set _Z17shuffle_up_kernelILj32EdEvPT0_j.uses_flat_scratch, 0
	.set _Z17shuffle_up_kernelILj32EdEvPT0_j.has_dyn_sized_stack, 0
	.set _Z17shuffle_up_kernelILj32EdEvPT0_j.has_recursion, 0
	.set _Z17shuffle_up_kernelILj32EdEvPT0_j.has_indirect_call, 0
	.section	.AMDGPU.csdata,"",@progbits
; Kernel info:
; codeLenInByte = 160
; TotalNumSgprs: 9
; NumVgprs: 5
; ScratchSize: 0
; MemoryBound: 0
; FloatMode: 240
; IeeeMode: 1
; LDSByteSize: 0 bytes/workgroup (compile time only)
; SGPRBlocks: 0
; VGPRBlocks: 0
; NumSGPRsForWavesPerEU: 9
; NumVGPRsForWavesPerEU: 5
; NamedBarCnt: 0
; Occupancy: 16
; WaveLimiterHint : 0
; COMPUTE_PGM_RSRC2:SCRATCH_EN: 0
; COMPUTE_PGM_RSRC2:USER_SGPR: 2
; COMPUTE_PGM_RSRC2:TRAP_HANDLER: 0
; COMPUTE_PGM_RSRC2:TGID_X_EN: 1
; COMPUTE_PGM_RSRC2:TGID_Y_EN: 0
; COMPUTE_PGM_RSRC2:TGID_Z_EN: 0
; COMPUTE_PGM_RSRC2:TIDIG_COMP_CNT: 0
	.section	.text._Z17shuffle_up_kernelILj32EfEvPT0_j,"axG",@progbits,_Z17shuffle_up_kernelILj32EfEvPT0_j,comdat
	.protected	_Z17shuffle_up_kernelILj32EfEvPT0_j ; -- Begin function _Z17shuffle_up_kernelILj32EfEvPT0_j
	.globl	_Z17shuffle_up_kernelILj32EfEvPT0_j
	.p2align	8
	.type	_Z17shuffle_up_kernelILj32EfEvPT0_j,@function
_Z17shuffle_up_kernelILj32EfEvPT0_j:    ; @_Z17shuffle_up_kernelILj32EfEvPT0_j
; %bb.0:
	s_clause 0x1
	s_load_b32 s2, s[0:1], 0x1c
	s_load_b96 s[4:6], s[0:1], 0x0
	s_wait_xcnt 0x0
	s_bfe_u32 s0, ttmp6, 0x4000c
	s_and_b32 s1, ttmp6, 15
	s_add_co_i32 s0, s0, 1
	s_getreg_b32 s3, hwreg(HW_REG_IB_STS2, 6, 4)
	s_mul_i32 s0, ttmp9, s0
	v_mbcnt_lo_u32_b32 v2, -1, 0
	s_add_co_i32 s1, s1, s0
	s_wait_kmcnt 0x0
	s_and_b32 s2, s2, 0xffff
	s_cmp_eq_u32 s3, 0
	v_subrev_nc_u32_e32 v3, s6, v2
	s_cselect_b32 s0, ttmp9, s1
	s_delay_alu instid0(SALU_CYCLE_1) | instskip(NEXT) | instid1(VALU_DEP_2)
	v_mad_u32 v0, s0, s2, v0
	v_cmp_gt_i32_e32 vcc_lo, 0, v3
	v_cndmask_b32_e32 v2, v3, v2, vcc_lo
	global_load_b32 v1, v0, s[4:5] scale_offset
	v_lshlrev_b32_e32 v2, 2, v2
	s_wait_loadcnt 0x0
	ds_bpermute_b32 v1, v2, v1
	s_wait_dscnt 0x0
	global_store_b32 v0, v1, s[4:5] scale_offset
	s_endpgm
	.section	.rodata,"a",@progbits
	.p2align	6, 0x0
	.amdhsa_kernel _Z17shuffle_up_kernelILj32EfEvPT0_j
		.amdhsa_group_segment_fixed_size 0
		.amdhsa_private_segment_fixed_size 0
		.amdhsa_kernarg_size 272
		.amdhsa_user_sgpr_count 2
		.amdhsa_user_sgpr_dispatch_ptr 0
		.amdhsa_user_sgpr_queue_ptr 0
		.amdhsa_user_sgpr_kernarg_segment_ptr 1
		.amdhsa_user_sgpr_dispatch_id 0
		.amdhsa_user_sgpr_kernarg_preload_length 0
		.amdhsa_user_sgpr_kernarg_preload_offset 0
		.amdhsa_user_sgpr_private_segment_size 0
		.amdhsa_wavefront_size32 1
		.amdhsa_uses_dynamic_stack 0
		.amdhsa_enable_private_segment 0
		.amdhsa_system_sgpr_workgroup_id_x 1
		.amdhsa_system_sgpr_workgroup_id_y 0
		.amdhsa_system_sgpr_workgroup_id_z 0
		.amdhsa_system_sgpr_workgroup_info 0
		.amdhsa_system_vgpr_workitem_id 0
		.amdhsa_next_free_vgpr 4
		.amdhsa_next_free_sgpr 7
		.amdhsa_named_barrier_count 0
		.amdhsa_reserve_vcc 1
		.amdhsa_float_round_mode_32 0
		.amdhsa_float_round_mode_16_64 0
		.amdhsa_float_denorm_mode_32 3
		.amdhsa_float_denorm_mode_16_64 3
		.amdhsa_fp16_overflow 0
		.amdhsa_memory_ordered 1
		.amdhsa_forward_progress 1
		.amdhsa_inst_pref_size 2
		.amdhsa_round_robin_scheduling 0
		.amdhsa_exception_fp_ieee_invalid_op 0
		.amdhsa_exception_fp_denorm_src 0
		.amdhsa_exception_fp_ieee_div_zero 0
		.amdhsa_exception_fp_ieee_overflow 0
		.amdhsa_exception_fp_ieee_underflow 0
		.amdhsa_exception_fp_ieee_inexact 0
		.amdhsa_exception_int_div_zero 0
	.end_amdhsa_kernel
	.section	.text._Z17shuffle_up_kernelILj32EfEvPT0_j,"axG",@progbits,_Z17shuffle_up_kernelILj32EfEvPT0_j,comdat
.Lfunc_end10:
	.size	_Z17shuffle_up_kernelILj32EfEvPT0_j, .Lfunc_end10-_Z17shuffle_up_kernelILj32EfEvPT0_j
                                        ; -- End function
	.set _Z17shuffle_up_kernelILj32EfEvPT0_j.num_vgpr, 4
	.set _Z17shuffle_up_kernelILj32EfEvPT0_j.num_agpr, 0
	.set _Z17shuffle_up_kernelILj32EfEvPT0_j.numbered_sgpr, 7
	.set _Z17shuffle_up_kernelILj32EfEvPT0_j.num_named_barrier, 0
	.set _Z17shuffle_up_kernelILj32EfEvPT0_j.private_seg_size, 0
	.set _Z17shuffle_up_kernelILj32EfEvPT0_j.uses_vcc, 1
	.set _Z17shuffle_up_kernelILj32EfEvPT0_j.uses_flat_scratch, 0
	.set _Z17shuffle_up_kernelILj32EfEvPT0_j.has_dyn_sized_stack, 0
	.set _Z17shuffle_up_kernelILj32EfEvPT0_j.has_recursion, 0
	.set _Z17shuffle_up_kernelILj32EfEvPT0_j.has_indirect_call, 0
	.section	.AMDGPU.csdata,"",@progbits
; Kernel info:
; codeLenInByte = 152
; TotalNumSgprs: 9
; NumVgprs: 4
; ScratchSize: 0
; MemoryBound: 0
; FloatMode: 240
; IeeeMode: 1
; LDSByteSize: 0 bytes/workgroup (compile time only)
; SGPRBlocks: 0
; VGPRBlocks: 0
; NumSGPRsForWavesPerEU: 9
; NumVGPRsForWavesPerEU: 4
; NamedBarCnt: 0
; Occupancy: 16
; WaveLimiterHint : 0
; COMPUTE_PGM_RSRC2:SCRATCH_EN: 0
; COMPUTE_PGM_RSRC2:USER_SGPR: 2
; COMPUTE_PGM_RSRC2:TRAP_HANDLER: 0
; COMPUTE_PGM_RSRC2:TGID_X_EN: 1
; COMPUTE_PGM_RSRC2:TGID_Y_EN: 0
; COMPUTE_PGM_RSRC2:TGID_Z_EN: 0
; COMPUTE_PGM_RSRC2:TIDIG_COMP_CNT: 0
	.section	.text._Z17shuffle_up_kernelILj2EiEvPT0_j,"axG",@progbits,_Z17shuffle_up_kernelILj2EiEvPT0_j,comdat
	.protected	_Z17shuffle_up_kernelILj2EiEvPT0_j ; -- Begin function _Z17shuffle_up_kernelILj2EiEvPT0_j
	.globl	_Z17shuffle_up_kernelILj2EiEvPT0_j
	.p2align	8
	.type	_Z17shuffle_up_kernelILj2EiEvPT0_j,@function
_Z17shuffle_up_kernelILj2EiEvPT0_j:     ; @_Z17shuffle_up_kernelILj2EiEvPT0_j
; %bb.0:
	s_clause 0x1
	s_load_b32 s2, s[0:1], 0x1c
	s_load_b96 s[4:6], s[0:1], 0x0
	s_wait_xcnt 0x0
	s_bfe_u32 s0, ttmp6, 0x4000c
	s_and_b32 s1, ttmp6, 15
	s_add_co_i32 s0, s0, 1
	s_getreg_b32 s3, hwreg(HW_REG_IB_STS2, 6, 4)
	s_mul_i32 s0, ttmp9, s0
	v_mbcnt_lo_u32_b32 v2, -1, 0
	s_add_co_i32 s1, s1, s0
	s_wait_kmcnt 0x0
	s_and_b32 s2, s2, 0xffff
	s_cmp_eq_u32 s3, 0
	v_subrev_nc_u32_e32 v3, s6, v2
	s_cselect_b32 s0, ttmp9, s1
	v_and_b32_e32 v4, 30, v2
	v_mad_u32 v0, s0, s2, v0
	s_delay_alu instid0(VALU_DEP_2)
	v_cmp_lt_i32_e32 vcc_lo, v3, v4
	v_cndmask_b32_e32 v2, v3, v2, vcc_lo
	global_load_b32 v1, v0, s[4:5] scale_offset
	v_lshlrev_b32_e32 v2, 2, v2
	s_wait_loadcnt 0x0
	ds_bpermute_b32 v1, v2, v1
	s_wait_dscnt 0x0
	global_store_b32 v0, v1, s[4:5] scale_offset
	s_endpgm
	.section	.rodata,"a",@progbits
	.p2align	6, 0x0
	.amdhsa_kernel _Z17shuffle_up_kernelILj2EiEvPT0_j
		.amdhsa_group_segment_fixed_size 0
		.amdhsa_private_segment_fixed_size 0
		.amdhsa_kernarg_size 272
		.amdhsa_user_sgpr_count 2
		.amdhsa_user_sgpr_dispatch_ptr 0
		.amdhsa_user_sgpr_queue_ptr 0
		.amdhsa_user_sgpr_kernarg_segment_ptr 1
		.amdhsa_user_sgpr_dispatch_id 0
		.amdhsa_user_sgpr_kernarg_preload_length 0
		.amdhsa_user_sgpr_kernarg_preload_offset 0
		.amdhsa_user_sgpr_private_segment_size 0
		.amdhsa_wavefront_size32 1
		.amdhsa_uses_dynamic_stack 0
		.amdhsa_enable_private_segment 0
		.amdhsa_system_sgpr_workgroup_id_x 1
		.amdhsa_system_sgpr_workgroup_id_y 0
		.amdhsa_system_sgpr_workgroup_id_z 0
		.amdhsa_system_sgpr_workgroup_info 0
		.amdhsa_system_vgpr_workitem_id 0
		.amdhsa_next_free_vgpr 5
		.amdhsa_next_free_sgpr 7
		.amdhsa_named_barrier_count 0
		.amdhsa_reserve_vcc 1
		.amdhsa_float_round_mode_32 0
		.amdhsa_float_round_mode_16_64 0
		.amdhsa_float_denorm_mode_32 3
		.amdhsa_float_denorm_mode_16_64 3
		.amdhsa_fp16_overflow 0
		.amdhsa_memory_ordered 1
		.amdhsa_forward_progress 1
		.amdhsa_inst_pref_size 2
		.amdhsa_round_robin_scheduling 0
		.amdhsa_exception_fp_ieee_invalid_op 0
		.amdhsa_exception_fp_denorm_src 0
		.amdhsa_exception_fp_ieee_div_zero 0
		.amdhsa_exception_fp_ieee_overflow 0
		.amdhsa_exception_fp_ieee_underflow 0
		.amdhsa_exception_fp_ieee_inexact 0
		.amdhsa_exception_int_div_zero 0
	.end_amdhsa_kernel
	.section	.text._Z17shuffle_up_kernelILj2EiEvPT0_j,"axG",@progbits,_Z17shuffle_up_kernelILj2EiEvPT0_j,comdat
.Lfunc_end11:
	.size	_Z17shuffle_up_kernelILj2EiEvPT0_j, .Lfunc_end11-_Z17shuffle_up_kernelILj2EiEvPT0_j
                                        ; -- End function
	.set _Z17shuffle_up_kernelILj2EiEvPT0_j.num_vgpr, 5
	.set _Z17shuffle_up_kernelILj2EiEvPT0_j.num_agpr, 0
	.set _Z17shuffle_up_kernelILj2EiEvPT0_j.numbered_sgpr, 7
	.set _Z17shuffle_up_kernelILj2EiEvPT0_j.num_named_barrier, 0
	.set _Z17shuffle_up_kernelILj2EiEvPT0_j.private_seg_size, 0
	.set _Z17shuffle_up_kernelILj2EiEvPT0_j.uses_vcc, 1
	.set _Z17shuffle_up_kernelILj2EiEvPT0_j.uses_flat_scratch, 0
	.set _Z17shuffle_up_kernelILj2EiEvPT0_j.has_dyn_sized_stack, 0
	.set _Z17shuffle_up_kernelILj2EiEvPT0_j.has_recursion, 0
	.set _Z17shuffle_up_kernelILj2EiEvPT0_j.has_indirect_call, 0
	.section	.AMDGPU.csdata,"",@progbits
; Kernel info:
; codeLenInByte = 156
; TotalNumSgprs: 9
; NumVgprs: 5
; ScratchSize: 0
; MemoryBound: 0
; FloatMode: 240
; IeeeMode: 1
; LDSByteSize: 0 bytes/workgroup (compile time only)
; SGPRBlocks: 0
; VGPRBlocks: 0
; NumSGPRsForWavesPerEU: 9
; NumVGPRsForWavesPerEU: 5
; NamedBarCnt: 0
; Occupancy: 16
; WaveLimiterHint : 0
; COMPUTE_PGM_RSRC2:SCRATCH_EN: 0
; COMPUTE_PGM_RSRC2:USER_SGPR: 2
; COMPUTE_PGM_RSRC2:TRAP_HANDLER: 0
; COMPUTE_PGM_RSRC2:TGID_X_EN: 1
; COMPUTE_PGM_RSRC2:TGID_Y_EN: 0
; COMPUTE_PGM_RSRC2:TGID_Z_EN: 0
; COMPUTE_PGM_RSRC2:TIDIG_COMP_CNT: 0
	.section	.text._Z17shuffle_up_kernelILj4EiEvPT0_j,"axG",@progbits,_Z17shuffle_up_kernelILj4EiEvPT0_j,comdat
	.protected	_Z17shuffle_up_kernelILj4EiEvPT0_j ; -- Begin function _Z17shuffle_up_kernelILj4EiEvPT0_j
	.globl	_Z17shuffle_up_kernelILj4EiEvPT0_j
	.p2align	8
	.type	_Z17shuffle_up_kernelILj4EiEvPT0_j,@function
_Z17shuffle_up_kernelILj4EiEvPT0_j:     ; @_Z17shuffle_up_kernelILj4EiEvPT0_j
; %bb.0:
	s_clause 0x1
	s_load_b32 s2, s[0:1], 0x1c
	s_load_b96 s[4:6], s[0:1], 0x0
	s_wait_xcnt 0x0
	s_bfe_u32 s0, ttmp6, 0x4000c
	s_and_b32 s1, ttmp6, 15
	s_add_co_i32 s0, s0, 1
	s_getreg_b32 s3, hwreg(HW_REG_IB_STS2, 6, 4)
	s_mul_i32 s0, ttmp9, s0
	v_mbcnt_lo_u32_b32 v2, -1, 0
	s_add_co_i32 s1, s1, s0
	s_wait_kmcnt 0x0
	s_and_b32 s2, s2, 0xffff
	s_cmp_eq_u32 s3, 0
	v_subrev_nc_u32_e32 v3, s6, v2
	s_cselect_b32 s0, ttmp9, s1
	v_and_b32_e32 v4, 28, v2
	v_mad_u32 v0, s0, s2, v0
	s_delay_alu instid0(VALU_DEP_2)
	v_cmp_lt_i32_e32 vcc_lo, v3, v4
	v_cndmask_b32_e32 v2, v3, v2, vcc_lo
	global_load_b32 v1, v0, s[4:5] scale_offset
	v_lshlrev_b32_e32 v2, 2, v2
	s_wait_loadcnt 0x0
	ds_bpermute_b32 v1, v2, v1
	s_wait_dscnt 0x0
	global_store_b32 v0, v1, s[4:5] scale_offset
	s_endpgm
	.section	.rodata,"a",@progbits
	.p2align	6, 0x0
	.amdhsa_kernel _Z17shuffle_up_kernelILj4EiEvPT0_j
		.amdhsa_group_segment_fixed_size 0
		.amdhsa_private_segment_fixed_size 0
		.amdhsa_kernarg_size 272
		.amdhsa_user_sgpr_count 2
		.amdhsa_user_sgpr_dispatch_ptr 0
		.amdhsa_user_sgpr_queue_ptr 0
		.amdhsa_user_sgpr_kernarg_segment_ptr 1
		.amdhsa_user_sgpr_dispatch_id 0
		.amdhsa_user_sgpr_kernarg_preload_length 0
		.amdhsa_user_sgpr_kernarg_preload_offset 0
		.amdhsa_user_sgpr_private_segment_size 0
		.amdhsa_wavefront_size32 1
		.amdhsa_uses_dynamic_stack 0
		.amdhsa_enable_private_segment 0
		.amdhsa_system_sgpr_workgroup_id_x 1
		.amdhsa_system_sgpr_workgroup_id_y 0
		.amdhsa_system_sgpr_workgroup_id_z 0
		.amdhsa_system_sgpr_workgroup_info 0
		.amdhsa_system_vgpr_workitem_id 0
		.amdhsa_next_free_vgpr 5
		.amdhsa_next_free_sgpr 7
		.amdhsa_named_barrier_count 0
		.amdhsa_reserve_vcc 1
		.amdhsa_float_round_mode_32 0
		.amdhsa_float_round_mode_16_64 0
		.amdhsa_float_denorm_mode_32 3
		.amdhsa_float_denorm_mode_16_64 3
		.amdhsa_fp16_overflow 0
		.amdhsa_memory_ordered 1
		.amdhsa_forward_progress 1
		.amdhsa_inst_pref_size 2
		.amdhsa_round_robin_scheduling 0
		.amdhsa_exception_fp_ieee_invalid_op 0
		.amdhsa_exception_fp_denorm_src 0
		.amdhsa_exception_fp_ieee_div_zero 0
		.amdhsa_exception_fp_ieee_overflow 0
		.amdhsa_exception_fp_ieee_underflow 0
		.amdhsa_exception_fp_ieee_inexact 0
		.amdhsa_exception_int_div_zero 0
	.end_amdhsa_kernel
	.section	.text._Z17shuffle_up_kernelILj4EiEvPT0_j,"axG",@progbits,_Z17shuffle_up_kernelILj4EiEvPT0_j,comdat
.Lfunc_end12:
	.size	_Z17shuffle_up_kernelILj4EiEvPT0_j, .Lfunc_end12-_Z17shuffle_up_kernelILj4EiEvPT0_j
                                        ; -- End function
	.set _Z17shuffle_up_kernelILj4EiEvPT0_j.num_vgpr, 5
	.set _Z17shuffle_up_kernelILj4EiEvPT0_j.num_agpr, 0
	.set _Z17shuffle_up_kernelILj4EiEvPT0_j.numbered_sgpr, 7
	.set _Z17shuffle_up_kernelILj4EiEvPT0_j.num_named_barrier, 0
	.set _Z17shuffle_up_kernelILj4EiEvPT0_j.private_seg_size, 0
	.set _Z17shuffle_up_kernelILj4EiEvPT0_j.uses_vcc, 1
	.set _Z17shuffle_up_kernelILj4EiEvPT0_j.uses_flat_scratch, 0
	.set _Z17shuffle_up_kernelILj4EiEvPT0_j.has_dyn_sized_stack, 0
	.set _Z17shuffle_up_kernelILj4EiEvPT0_j.has_recursion, 0
	.set _Z17shuffle_up_kernelILj4EiEvPT0_j.has_indirect_call, 0
	.section	.AMDGPU.csdata,"",@progbits
; Kernel info:
; codeLenInByte = 156
; TotalNumSgprs: 9
; NumVgprs: 5
; ScratchSize: 0
; MemoryBound: 0
; FloatMode: 240
; IeeeMode: 1
; LDSByteSize: 0 bytes/workgroup (compile time only)
; SGPRBlocks: 0
; VGPRBlocks: 0
; NumSGPRsForWavesPerEU: 9
; NumVGPRsForWavesPerEU: 5
; NamedBarCnt: 0
; Occupancy: 16
; WaveLimiterHint : 0
; COMPUTE_PGM_RSRC2:SCRATCH_EN: 0
; COMPUTE_PGM_RSRC2:USER_SGPR: 2
; COMPUTE_PGM_RSRC2:TRAP_HANDLER: 0
; COMPUTE_PGM_RSRC2:TGID_X_EN: 1
; COMPUTE_PGM_RSRC2:TGID_Y_EN: 0
; COMPUTE_PGM_RSRC2:TGID_Z_EN: 0
; COMPUTE_PGM_RSRC2:TIDIG_COMP_CNT: 0
	.section	.text._Z17shuffle_up_kernelILj8EiEvPT0_j,"axG",@progbits,_Z17shuffle_up_kernelILj8EiEvPT0_j,comdat
	.protected	_Z17shuffle_up_kernelILj8EiEvPT0_j ; -- Begin function _Z17shuffle_up_kernelILj8EiEvPT0_j
	.globl	_Z17shuffle_up_kernelILj8EiEvPT0_j
	.p2align	8
	.type	_Z17shuffle_up_kernelILj8EiEvPT0_j,@function
_Z17shuffle_up_kernelILj8EiEvPT0_j:     ; @_Z17shuffle_up_kernelILj8EiEvPT0_j
; %bb.0:
	s_clause 0x1
	s_load_b32 s2, s[0:1], 0x1c
	s_load_b96 s[4:6], s[0:1], 0x0
	s_wait_xcnt 0x0
	s_bfe_u32 s0, ttmp6, 0x4000c
	s_and_b32 s1, ttmp6, 15
	s_add_co_i32 s0, s0, 1
	s_getreg_b32 s3, hwreg(HW_REG_IB_STS2, 6, 4)
	s_mul_i32 s0, ttmp9, s0
	v_mbcnt_lo_u32_b32 v2, -1, 0
	s_add_co_i32 s1, s1, s0
	s_wait_kmcnt 0x0
	s_and_b32 s2, s2, 0xffff
	s_cmp_eq_u32 s3, 0
	v_subrev_nc_u32_e32 v3, s6, v2
	s_cselect_b32 s0, ttmp9, s1
	v_and_b32_e32 v4, 24, v2
	v_mad_u32 v0, s0, s2, v0
	s_delay_alu instid0(VALU_DEP_2)
	v_cmp_lt_i32_e32 vcc_lo, v3, v4
	v_cndmask_b32_e32 v2, v3, v2, vcc_lo
	global_load_b32 v1, v0, s[4:5] scale_offset
	v_lshlrev_b32_e32 v2, 2, v2
	s_wait_loadcnt 0x0
	ds_bpermute_b32 v1, v2, v1
	s_wait_dscnt 0x0
	global_store_b32 v0, v1, s[4:5] scale_offset
	s_endpgm
	.section	.rodata,"a",@progbits
	.p2align	6, 0x0
	.amdhsa_kernel _Z17shuffle_up_kernelILj8EiEvPT0_j
		.amdhsa_group_segment_fixed_size 0
		.amdhsa_private_segment_fixed_size 0
		.amdhsa_kernarg_size 272
		.amdhsa_user_sgpr_count 2
		.amdhsa_user_sgpr_dispatch_ptr 0
		.amdhsa_user_sgpr_queue_ptr 0
		.amdhsa_user_sgpr_kernarg_segment_ptr 1
		.amdhsa_user_sgpr_dispatch_id 0
		.amdhsa_user_sgpr_kernarg_preload_length 0
		.amdhsa_user_sgpr_kernarg_preload_offset 0
		.amdhsa_user_sgpr_private_segment_size 0
		.amdhsa_wavefront_size32 1
		.amdhsa_uses_dynamic_stack 0
		.amdhsa_enable_private_segment 0
		.amdhsa_system_sgpr_workgroup_id_x 1
		.amdhsa_system_sgpr_workgroup_id_y 0
		.amdhsa_system_sgpr_workgroup_id_z 0
		.amdhsa_system_sgpr_workgroup_info 0
		.amdhsa_system_vgpr_workitem_id 0
		.amdhsa_next_free_vgpr 5
		.amdhsa_next_free_sgpr 7
		.amdhsa_named_barrier_count 0
		.amdhsa_reserve_vcc 1
		.amdhsa_float_round_mode_32 0
		.amdhsa_float_round_mode_16_64 0
		.amdhsa_float_denorm_mode_32 3
		.amdhsa_float_denorm_mode_16_64 3
		.amdhsa_fp16_overflow 0
		.amdhsa_memory_ordered 1
		.amdhsa_forward_progress 1
		.amdhsa_inst_pref_size 2
		.amdhsa_round_robin_scheduling 0
		.amdhsa_exception_fp_ieee_invalid_op 0
		.amdhsa_exception_fp_denorm_src 0
		.amdhsa_exception_fp_ieee_div_zero 0
		.amdhsa_exception_fp_ieee_overflow 0
		.amdhsa_exception_fp_ieee_underflow 0
		.amdhsa_exception_fp_ieee_inexact 0
		.amdhsa_exception_int_div_zero 0
	.end_amdhsa_kernel
	.section	.text._Z17shuffle_up_kernelILj8EiEvPT0_j,"axG",@progbits,_Z17shuffle_up_kernelILj8EiEvPT0_j,comdat
.Lfunc_end13:
	.size	_Z17shuffle_up_kernelILj8EiEvPT0_j, .Lfunc_end13-_Z17shuffle_up_kernelILj8EiEvPT0_j
                                        ; -- End function
	.set _Z17shuffle_up_kernelILj8EiEvPT0_j.num_vgpr, 5
	.set _Z17shuffle_up_kernelILj8EiEvPT0_j.num_agpr, 0
	.set _Z17shuffle_up_kernelILj8EiEvPT0_j.numbered_sgpr, 7
	.set _Z17shuffle_up_kernelILj8EiEvPT0_j.num_named_barrier, 0
	.set _Z17shuffle_up_kernelILj8EiEvPT0_j.private_seg_size, 0
	.set _Z17shuffle_up_kernelILj8EiEvPT0_j.uses_vcc, 1
	.set _Z17shuffle_up_kernelILj8EiEvPT0_j.uses_flat_scratch, 0
	.set _Z17shuffle_up_kernelILj8EiEvPT0_j.has_dyn_sized_stack, 0
	.set _Z17shuffle_up_kernelILj8EiEvPT0_j.has_recursion, 0
	.set _Z17shuffle_up_kernelILj8EiEvPT0_j.has_indirect_call, 0
	.section	.AMDGPU.csdata,"",@progbits
; Kernel info:
; codeLenInByte = 156
; TotalNumSgprs: 9
; NumVgprs: 5
; ScratchSize: 0
; MemoryBound: 0
; FloatMode: 240
; IeeeMode: 1
; LDSByteSize: 0 bytes/workgroup (compile time only)
; SGPRBlocks: 0
; VGPRBlocks: 0
; NumSGPRsForWavesPerEU: 9
; NumVGPRsForWavesPerEU: 5
; NamedBarCnt: 0
; Occupancy: 16
; WaveLimiterHint : 0
; COMPUTE_PGM_RSRC2:SCRATCH_EN: 0
; COMPUTE_PGM_RSRC2:USER_SGPR: 2
; COMPUTE_PGM_RSRC2:TRAP_HANDLER: 0
; COMPUTE_PGM_RSRC2:TGID_X_EN: 1
; COMPUTE_PGM_RSRC2:TGID_Y_EN: 0
; COMPUTE_PGM_RSRC2:TGID_Z_EN: 0
; COMPUTE_PGM_RSRC2:TIDIG_COMP_CNT: 0
	.section	.text._Z17shuffle_up_kernelILj16EiEvPT0_j,"axG",@progbits,_Z17shuffle_up_kernelILj16EiEvPT0_j,comdat
	.protected	_Z17shuffle_up_kernelILj16EiEvPT0_j ; -- Begin function _Z17shuffle_up_kernelILj16EiEvPT0_j
	.globl	_Z17shuffle_up_kernelILj16EiEvPT0_j
	.p2align	8
	.type	_Z17shuffle_up_kernelILj16EiEvPT0_j,@function
_Z17shuffle_up_kernelILj16EiEvPT0_j:    ; @_Z17shuffle_up_kernelILj16EiEvPT0_j
; %bb.0:
	s_clause 0x1
	s_load_b32 s2, s[0:1], 0x1c
	s_load_b96 s[4:6], s[0:1], 0x0
	s_wait_xcnt 0x0
	s_bfe_u32 s0, ttmp6, 0x4000c
	s_and_b32 s1, ttmp6, 15
	s_add_co_i32 s0, s0, 1
	s_getreg_b32 s3, hwreg(HW_REG_IB_STS2, 6, 4)
	s_mul_i32 s0, ttmp9, s0
	v_mbcnt_lo_u32_b32 v2, -1, 0
	s_add_co_i32 s1, s1, s0
	s_wait_kmcnt 0x0
	s_and_b32 s2, s2, 0xffff
	s_cmp_eq_u32 s3, 0
	v_subrev_nc_u32_e32 v3, s6, v2
	s_cselect_b32 s0, ttmp9, s1
	v_and_b32_e32 v4, 16, v2
	v_mad_u32 v0, s0, s2, v0
	s_delay_alu instid0(VALU_DEP_2)
	v_cmp_lt_i32_e32 vcc_lo, v3, v4
	v_cndmask_b32_e32 v2, v3, v2, vcc_lo
	global_load_b32 v1, v0, s[4:5] scale_offset
	v_lshlrev_b32_e32 v2, 2, v2
	s_wait_loadcnt 0x0
	ds_bpermute_b32 v1, v2, v1
	s_wait_dscnt 0x0
	global_store_b32 v0, v1, s[4:5] scale_offset
	s_endpgm
	.section	.rodata,"a",@progbits
	.p2align	6, 0x0
	.amdhsa_kernel _Z17shuffle_up_kernelILj16EiEvPT0_j
		.amdhsa_group_segment_fixed_size 0
		.amdhsa_private_segment_fixed_size 0
		.amdhsa_kernarg_size 272
		.amdhsa_user_sgpr_count 2
		.amdhsa_user_sgpr_dispatch_ptr 0
		.amdhsa_user_sgpr_queue_ptr 0
		.amdhsa_user_sgpr_kernarg_segment_ptr 1
		.amdhsa_user_sgpr_dispatch_id 0
		.amdhsa_user_sgpr_kernarg_preload_length 0
		.amdhsa_user_sgpr_kernarg_preload_offset 0
		.amdhsa_user_sgpr_private_segment_size 0
		.amdhsa_wavefront_size32 1
		.amdhsa_uses_dynamic_stack 0
		.amdhsa_enable_private_segment 0
		.amdhsa_system_sgpr_workgroup_id_x 1
		.amdhsa_system_sgpr_workgroup_id_y 0
		.amdhsa_system_sgpr_workgroup_id_z 0
		.amdhsa_system_sgpr_workgroup_info 0
		.amdhsa_system_vgpr_workitem_id 0
		.amdhsa_next_free_vgpr 5
		.amdhsa_next_free_sgpr 7
		.amdhsa_named_barrier_count 0
		.amdhsa_reserve_vcc 1
		.amdhsa_float_round_mode_32 0
		.amdhsa_float_round_mode_16_64 0
		.amdhsa_float_denorm_mode_32 3
		.amdhsa_float_denorm_mode_16_64 3
		.amdhsa_fp16_overflow 0
		.amdhsa_memory_ordered 1
		.amdhsa_forward_progress 1
		.amdhsa_inst_pref_size 2
		.amdhsa_round_robin_scheduling 0
		.amdhsa_exception_fp_ieee_invalid_op 0
		.amdhsa_exception_fp_denorm_src 0
		.amdhsa_exception_fp_ieee_div_zero 0
		.amdhsa_exception_fp_ieee_overflow 0
		.amdhsa_exception_fp_ieee_underflow 0
		.amdhsa_exception_fp_ieee_inexact 0
		.amdhsa_exception_int_div_zero 0
	.end_amdhsa_kernel
	.section	.text._Z17shuffle_up_kernelILj16EiEvPT0_j,"axG",@progbits,_Z17shuffle_up_kernelILj16EiEvPT0_j,comdat
.Lfunc_end14:
	.size	_Z17shuffle_up_kernelILj16EiEvPT0_j, .Lfunc_end14-_Z17shuffle_up_kernelILj16EiEvPT0_j
                                        ; -- End function
	.set _Z17shuffle_up_kernelILj16EiEvPT0_j.num_vgpr, 5
	.set _Z17shuffle_up_kernelILj16EiEvPT0_j.num_agpr, 0
	.set _Z17shuffle_up_kernelILj16EiEvPT0_j.numbered_sgpr, 7
	.set _Z17shuffle_up_kernelILj16EiEvPT0_j.num_named_barrier, 0
	.set _Z17shuffle_up_kernelILj16EiEvPT0_j.private_seg_size, 0
	.set _Z17shuffle_up_kernelILj16EiEvPT0_j.uses_vcc, 1
	.set _Z17shuffle_up_kernelILj16EiEvPT0_j.uses_flat_scratch, 0
	.set _Z17shuffle_up_kernelILj16EiEvPT0_j.has_dyn_sized_stack, 0
	.set _Z17shuffle_up_kernelILj16EiEvPT0_j.has_recursion, 0
	.set _Z17shuffle_up_kernelILj16EiEvPT0_j.has_indirect_call, 0
	.section	.AMDGPU.csdata,"",@progbits
; Kernel info:
; codeLenInByte = 156
; TotalNumSgprs: 9
; NumVgprs: 5
; ScratchSize: 0
; MemoryBound: 0
; FloatMode: 240
; IeeeMode: 1
; LDSByteSize: 0 bytes/workgroup (compile time only)
; SGPRBlocks: 0
; VGPRBlocks: 0
; NumSGPRsForWavesPerEU: 9
; NumVGPRsForWavesPerEU: 5
; NamedBarCnt: 0
; Occupancy: 16
; WaveLimiterHint : 0
; COMPUTE_PGM_RSRC2:SCRATCH_EN: 0
; COMPUTE_PGM_RSRC2:USER_SGPR: 2
; COMPUTE_PGM_RSRC2:TRAP_HANDLER: 0
; COMPUTE_PGM_RSRC2:TGID_X_EN: 1
; COMPUTE_PGM_RSRC2:TGID_Y_EN: 0
; COMPUTE_PGM_RSRC2:TGID_Z_EN: 0
; COMPUTE_PGM_RSRC2:TIDIG_COMP_CNT: 0
	.section	.text._Z17shuffle_up_kernelILj32EiEvPT0_j,"axG",@progbits,_Z17shuffle_up_kernelILj32EiEvPT0_j,comdat
	.protected	_Z17shuffle_up_kernelILj32EiEvPT0_j ; -- Begin function _Z17shuffle_up_kernelILj32EiEvPT0_j
	.globl	_Z17shuffle_up_kernelILj32EiEvPT0_j
	.p2align	8
	.type	_Z17shuffle_up_kernelILj32EiEvPT0_j,@function
_Z17shuffle_up_kernelILj32EiEvPT0_j:    ; @_Z17shuffle_up_kernelILj32EiEvPT0_j
; %bb.0:
	s_clause 0x1
	s_load_b32 s2, s[0:1], 0x1c
	s_load_b96 s[4:6], s[0:1], 0x0
	s_wait_xcnt 0x0
	s_bfe_u32 s0, ttmp6, 0x4000c
	s_and_b32 s1, ttmp6, 15
	s_add_co_i32 s0, s0, 1
	s_getreg_b32 s3, hwreg(HW_REG_IB_STS2, 6, 4)
	s_mul_i32 s0, ttmp9, s0
	v_mbcnt_lo_u32_b32 v2, -1, 0
	s_add_co_i32 s1, s1, s0
	s_wait_kmcnt 0x0
	s_and_b32 s2, s2, 0xffff
	s_cmp_eq_u32 s3, 0
	v_subrev_nc_u32_e32 v3, s6, v2
	s_cselect_b32 s0, ttmp9, s1
	s_delay_alu instid0(SALU_CYCLE_1) | instskip(NEXT) | instid1(VALU_DEP_2)
	v_mad_u32 v0, s0, s2, v0
	v_cmp_gt_i32_e32 vcc_lo, 0, v3
	v_cndmask_b32_e32 v2, v3, v2, vcc_lo
	global_load_b32 v1, v0, s[4:5] scale_offset
	v_lshlrev_b32_e32 v2, 2, v2
	s_wait_loadcnt 0x0
	ds_bpermute_b32 v1, v2, v1
	s_wait_dscnt 0x0
	global_store_b32 v0, v1, s[4:5] scale_offset
	s_endpgm
	.section	.rodata,"a",@progbits
	.p2align	6, 0x0
	.amdhsa_kernel _Z17shuffle_up_kernelILj32EiEvPT0_j
		.amdhsa_group_segment_fixed_size 0
		.amdhsa_private_segment_fixed_size 0
		.amdhsa_kernarg_size 272
		.amdhsa_user_sgpr_count 2
		.amdhsa_user_sgpr_dispatch_ptr 0
		.amdhsa_user_sgpr_queue_ptr 0
		.amdhsa_user_sgpr_kernarg_segment_ptr 1
		.amdhsa_user_sgpr_dispatch_id 0
		.amdhsa_user_sgpr_kernarg_preload_length 0
		.amdhsa_user_sgpr_kernarg_preload_offset 0
		.amdhsa_user_sgpr_private_segment_size 0
		.amdhsa_wavefront_size32 1
		.amdhsa_uses_dynamic_stack 0
		.amdhsa_enable_private_segment 0
		.amdhsa_system_sgpr_workgroup_id_x 1
		.amdhsa_system_sgpr_workgroup_id_y 0
		.amdhsa_system_sgpr_workgroup_id_z 0
		.amdhsa_system_sgpr_workgroup_info 0
		.amdhsa_system_vgpr_workitem_id 0
		.amdhsa_next_free_vgpr 4
		.amdhsa_next_free_sgpr 7
		.amdhsa_named_barrier_count 0
		.amdhsa_reserve_vcc 1
		.amdhsa_float_round_mode_32 0
		.amdhsa_float_round_mode_16_64 0
		.amdhsa_float_denorm_mode_32 3
		.amdhsa_float_denorm_mode_16_64 3
		.amdhsa_fp16_overflow 0
		.amdhsa_memory_ordered 1
		.amdhsa_forward_progress 1
		.amdhsa_inst_pref_size 2
		.amdhsa_round_robin_scheduling 0
		.amdhsa_exception_fp_ieee_invalid_op 0
		.amdhsa_exception_fp_denorm_src 0
		.amdhsa_exception_fp_ieee_div_zero 0
		.amdhsa_exception_fp_ieee_overflow 0
		.amdhsa_exception_fp_ieee_underflow 0
		.amdhsa_exception_fp_ieee_inexact 0
		.amdhsa_exception_int_div_zero 0
	.end_amdhsa_kernel
	.section	.text._Z17shuffle_up_kernelILj32EiEvPT0_j,"axG",@progbits,_Z17shuffle_up_kernelILj32EiEvPT0_j,comdat
.Lfunc_end15:
	.size	_Z17shuffle_up_kernelILj32EiEvPT0_j, .Lfunc_end15-_Z17shuffle_up_kernelILj32EiEvPT0_j
                                        ; -- End function
	.set _Z17shuffle_up_kernelILj32EiEvPT0_j.num_vgpr, 4
	.set _Z17shuffle_up_kernelILj32EiEvPT0_j.num_agpr, 0
	.set _Z17shuffle_up_kernelILj32EiEvPT0_j.numbered_sgpr, 7
	.set _Z17shuffle_up_kernelILj32EiEvPT0_j.num_named_barrier, 0
	.set _Z17shuffle_up_kernelILj32EiEvPT0_j.private_seg_size, 0
	.set _Z17shuffle_up_kernelILj32EiEvPT0_j.uses_vcc, 1
	.set _Z17shuffle_up_kernelILj32EiEvPT0_j.uses_flat_scratch, 0
	.set _Z17shuffle_up_kernelILj32EiEvPT0_j.has_dyn_sized_stack, 0
	.set _Z17shuffle_up_kernelILj32EiEvPT0_j.has_recursion, 0
	.set _Z17shuffle_up_kernelILj32EiEvPT0_j.has_indirect_call, 0
	.section	.AMDGPU.csdata,"",@progbits
; Kernel info:
; codeLenInByte = 152
; TotalNumSgprs: 9
; NumVgprs: 4
; ScratchSize: 0
; MemoryBound: 0
; FloatMode: 240
; IeeeMode: 1
; LDSByteSize: 0 bytes/workgroup (compile time only)
; SGPRBlocks: 0
; VGPRBlocks: 0
; NumSGPRsForWavesPerEU: 9
; NumVGPRsForWavesPerEU: 4
; NamedBarCnt: 0
; Occupancy: 16
; WaveLimiterHint : 0
; COMPUTE_PGM_RSRC2:SCRATCH_EN: 0
; COMPUTE_PGM_RSRC2:USER_SGPR: 2
; COMPUTE_PGM_RSRC2:TRAP_HANDLER: 0
; COMPUTE_PGM_RSRC2:TGID_X_EN: 1
; COMPUTE_PGM_RSRC2:TGID_Y_EN: 0
; COMPUTE_PGM_RSRC2:TGID_Z_EN: 0
; COMPUTE_PGM_RSRC2:TIDIG_COMP_CNT: 0
	.section	.text._Z19shuffle_down_kernelILj64E12hip_bfloat16EvPT0_j,"axG",@progbits,_Z19shuffle_down_kernelILj64E12hip_bfloat16EvPT0_j,comdat
	.protected	_Z19shuffle_down_kernelILj64E12hip_bfloat16EvPT0_j ; -- Begin function _Z19shuffle_down_kernelILj64E12hip_bfloat16EvPT0_j
	.globl	_Z19shuffle_down_kernelILj64E12hip_bfloat16EvPT0_j
	.p2align	8
	.type	_Z19shuffle_down_kernelILj64E12hip_bfloat16EvPT0_j,@function
_Z19shuffle_down_kernelILj64E12hip_bfloat16EvPT0_j: ; @_Z19shuffle_down_kernelILj64E12hip_bfloat16EvPT0_j
; %bb.0:
	s_clause 0x1
	s_load_b32 s2, s[0:1], 0x1c
	s_load_b96 s[4:6], s[0:1], 0x0
	s_wait_xcnt 0x0
	s_bfe_u32 s0, ttmp6, 0x4000c
	s_and_b32 s1, ttmp6, 15
	s_add_co_i32 s0, s0, 1
	s_getreg_b32 s3, hwreg(HW_REG_IB_STS2, 6, 4)
	s_mul_i32 s0, ttmp9, s0
	v_mbcnt_lo_u32_b32 v2, -1, 0
	s_add_co_i32 s1, s1, s0
	s_wait_kmcnt 0x0
	s_and_b32 s2, s2, 0xffff
	s_cmp_eq_u32 s3, 0
	v_add_nc_u32_e32 v3, s6, v2
	s_cselect_b32 s0, ttmp9, s1
	s_delay_alu instid0(SALU_CYCLE_1) | instskip(NEXT) | instid1(VALU_DEP_2)
	v_mad_u32 v0, s0, s2, v0
	v_cmp_gt_i32_e32 vcc_lo, 64, v3
	v_cndmask_b32_e64 v3, 0, s6, vcc_lo
	global_load_u16 v1, v0, s[4:5] scale_offset
	v_add_lshl_u32 v2, v3, v2, 2
	s_wait_loadcnt 0x0
	ds_bpermute_b32 v1, v2, v1
	s_wait_dscnt 0x0
	global_store_b16 v0, v1, s[4:5] scale_offset
	s_endpgm
	.section	.rodata,"a",@progbits
	.p2align	6, 0x0
	.amdhsa_kernel _Z19shuffle_down_kernelILj64E12hip_bfloat16EvPT0_j
		.amdhsa_group_segment_fixed_size 0
		.amdhsa_private_segment_fixed_size 0
		.amdhsa_kernarg_size 272
		.amdhsa_user_sgpr_count 2
		.amdhsa_user_sgpr_dispatch_ptr 0
		.amdhsa_user_sgpr_queue_ptr 0
		.amdhsa_user_sgpr_kernarg_segment_ptr 1
		.amdhsa_user_sgpr_dispatch_id 0
		.amdhsa_user_sgpr_kernarg_preload_length 0
		.amdhsa_user_sgpr_kernarg_preload_offset 0
		.amdhsa_user_sgpr_private_segment_size 0
		.amdhsa_wavefront_size32 1
		.amdhsa_uses_dynamic_stack 0
		.amdhsa_enable_private_segment 0
		.amdhsa_system_sgpr_workgroup_id_x 1
		.amdhsa_system_sgpr_workgroup_id_y 0
		.amdhsa_system_sgpr_workgroup_id_z 0
		.amdhsa_system_sgpr_workgroup_info 0
		.amdhsa_system_vgpr_workitem_id 0
		.amdhsa_next_free_vgpr 4
		.amdhsa_next_free_sgpr 7
		.amdhsa_named_barrier_count 0
		.amdhsa_reserve_vcc 1
		.amdhsa_float_round_mode_32 0
		.amdhsa_float_round_mode_16_64 0
		.amdhsa_float_denorm_mode_32 3
		.amdhsa_float_denorm_mode_16_64 3
		.amdhsa_fp16_overflow 0
		.amdhsa_memory_ordered 1
		.amdhsa_forward_progress 1
		.amdhsa_inst_pref_size 2
		.amdhsa_round_robin_scheduling 0
		.amdhsa_exception_fp_ieee_invalid_op 0
		.amdhsa_exception_fp_denorm_src 0
		.amdhsa_exception_fp_ieee_div_zero 0
		.amdhsa_exception_fp_ieee_overflow 0
		.amdhsa_exception_fp_ieee_underflow 0
		.amdhsa_exception_fp_ieee_inexact 0
		.amdhsa_exception_int_div_zero 0
	.end_amdhsa_kernel
	.section	.text._Z19shuffle_down_kernelILj64E12hip_bfloat16EvPT0_j,"axG",@progbits,_Z19shuffle_down_kernelILj64E12hip_bfloat16EvPT0_j,comdat
.Lfunc_end16:
	.size	_Z19shuffle_down_kernelILj64E12hip_bfloat16EvPT0_j, .Lfunc_end16-_Z19shuffle_down_kernelILj64E12hip_bfloat16EvPT0_j
                                        ; -- End function
	.set _Z19shuffle_down_kernelILj64E12hip_bfloat16EvPT0_j.num_vgpr, 4
	.set _Z19shuffle_down_kernelILj64E12hip_bfloat16EvPT0_j.num_agpr, 0
	.set _Z19shuffle_down_kernelILj64E12hip_bfloat16EvPT0_j.numbered_sgpr, 7
	.set _Z19shuffle_down_kernelILj64E12hip_bfloat16EvPT0_j.num_named_barrier, 0
	.set _Z19shuffle_down_kernelILj64E12hip_bfloat16EvPT0_j.private_seg_size, 0
	.set _Z19shuffle_down_kernelILj64E12hip_bfloat16EvPT0_j.uses_vcc, 1
	.set _Z19shuffle_down_kernelILj64E12hip_bfloat16EvPT0_j.uses_flat_scratch, 0
	.set _Z19shuffle_down_kernelILj64E12hip_bfloat16EvPT0_j.has_dyn_sized_stack, 0
	.set _Z19shuffle_down_kernelILj64E12hip_bfloat16EvPT0_j.has_recursion, 0
	.set _Z19shuffle_down_kernelILj64E12hip_bfloat16EvPT0_j.has_indirect_call, 0
	.section	.AMDGPU.csdata,"",@progbits
; Kernel info:
; codeLenInByte = 160
; TotalNumSgprs: 9
; NumVgprs: 4
; ScratchSize: 0
; MemoryBound: 0
; FloatMode: 240
; IeeeMode: 1
; LDSByteSize: 0 bytes/workgroup (compile time only)
; SGPRBlocks: 0
; VGPRBlocks: 0
; NumSGPRsForWavesPerEU: 9
; NumVGPRsForWavesPerEU: 4
; NamedBarCnt: 0
; Occupancy: 16
; WaveLimiterHint : 0
; COMPUTE_PGM_RSRC2:SCRATCH_EN: 0
; COMPUTE_PGM_RSRC2:USER_SGPR: 2
; COMPUTE_PGM_RSRC2:TRAP_HANDLER: 0
; COMPUTE_PGM_RSRC2:TGID_X_EN: 1
; COMPUTE_PGM_RSRC2:TGID_Y_EN: 0
; COMPUTE_PGM_RSRC2:TGID_Z_EN: 0
; COMPUTE_PGM_RSRC2:TIDIG_COMP_CNT: 0
	.section	.text._Z19shuffle_down_kernelILj64E6__halfEvPT0_j,"axG",@progbits,_Z19shuffle_down_kernelILj64E6__halfEvPT0_j,comdat
	.protected	_Z19shuffle_down_kernelILj64E6__halfEvPT0_j ; -- Begin function _Z19shuffle_down_kernelILj64E6__halfEvPT0_j
	.globl	_Z19shuffle_down_kernelILj64E6__halfEvPT0_j
	.p2align	8
	.type	_Z19shuffle_down_kernelILj64E6__halfEvPT0_j,@function
_Z19shuffle_down_kernelILj64E6__halfEvPT0_j: ; @_Z19shuffle_down_kernelILj64E6__halfEvPT0_j
; %bb.0:
	s_clause 0x1
	s_load_b32 s2, s[0:1], 0x1c
	s_load_b96 s[4:6], s[0:1], 0x0
	s_wait_xcnt 0x0
	s_bfe_u32 s0, ttmp6, 0x4000c
	s_and_b32 s1, ttmp6, 15
	s_add_co_i32 s0, s0, 1
	s_getreg_b32 s3, hwreg(HW_REG_IB_STS2, 6, 4)
	s_mul_i32 s0, ttmp9, s0
	v_mbcnt_lo_u32_b32 v2, -1, 0
	s_add_co_i32 s1, s1, s0
	s_wait_kmcnt 0x0
	s_and_b32 s2, s2, 0xffff
	s_cmp_eq_u32 s3, 0
	v_add_nc_u32_e32 v3, s6, v2
	s_cselect_b32 s0, ttmp9, s1
	s_delay_alu instid0(SALU_CYCLE_1) | instskip(NEXT) | instid1(VALU_DEP_2)
	v_mad_u32 v0, s0, s2, v0
	v_cmp_gt_i32_e32 vcc_lo, 64, v3
	v_cndmask_b32_e64 v3, 0, s6, vcc_lo
	global_load_u16 v1, v0, s[4:5] scale_offset
	v_add_lshl_u32 v2, v3, v2, 2
	s_wait_loadcnt 0x0
	ds_bpermute_b32 v1, v2, v1
	s_wait_dscnt 0x0
	global_store_b16 v0, v1, s[4:5] scale_offset
	s_endpgm
	.section	.rodata,"a",@progbits
	.p2align	6, 0x0
	.amdhsa_kernel _Z19shuffle_down_kernelILj64E6__halfEvPT0_j
		.amdhsa_group_segment_fixed_size 0
		.amdhsa_private_segment_fixed_size 0
		.amdhsa_kernarg_size 272
		.amdhsa_user_sgpr_count 2
		.amdhsa_user_sgpr_dispatch_ptr 0
		.amdhsa_user_sgpr_queue_ptr 0
		.amdhsa_user_sgpr_kernarg_segment_ptr 1
		.amdhsa_user_sgpr_dispatch_id 0
		.amdhsa_user_sgpr_kernarg_preload_length 0
		.amdhsa_user_sgpr_kernarg_preload_offset 0
		.amdhsa_user_sgpr_private_segment_size 0
		.amdhsa_wavefront_size32 1
		.amdhsa_uses_dynamic_stack 0
		.amdhsa_enable_private_segment 0
		.amdhsa_system_sgpr_workgroup_id_x 1
		.amdhsa_system_sgpr_workgroup_id_y 0
		.amdhsa_system_sgpr_workgroup_id_z 0
		.amdhsa_system_sgpr_workgroup_info 0
		.amdhsa_system_vgpr_workitem_id 0
		.amdhsa_next_free_vgpr 4
		.amdhsa_next_free_sgpr 7
		.amdhsa_named_barrier_count 0
		.amdhsa_reserve_vcc 1
		.amdhsa_float_round_mode_32 0
		.amdhsa_float_round_mode_16_64 0
		.amdhsa_float_denorm_mode_32 3
		.amdhsa_float_denorm_mode_16_64 3
		.amdhsa_fp16_overflow 0
		.amdhsa_memory_ordered 1
		.amdhsa_forward_progress 1
		.amdhsa_inst_pref_size 2
		.amdhsa_round_robin_scheduling 0
		.amdhsa_exception_fp_ieee_invalid_op 0
		.amdhsa_exception_fp_denorm_src 0
		.amdhsa_exception_fp_ieee_div_zero 0
		.amdhsa_exception_fp_ieee_overflow 0
		.amdhsa_exception_fp_ieee_underflow 0
		.amdhsa_exception_fp_ieee_inexact 0
		.amdhsa_exception_int_div_zero 0
	.end_amdhsa_kernel
	.section	.text._Z19shuffle_down_kernelILj64E6__halfEvPT0_j,"axG",@progbits,_Z19shuffle_down_kernelILj64E6__halfEvPT0_j,comdat
.Lfunc_end17:
	.size	_Z19shuffle_down_kernelILj64E6__halfEvPT0_j, .Lfunc_end17-_Z19shuffle_down_kernelILj64E6__halfEvPT0_j
                                        ; -- End function
	.set _Z19shuffle_down_kernelILj64E6__halfEvPT0_j.num_vgpr, 4
	.set _Z19shuffle_down_kernelILj64E6__halfEvPT0_j.num_agpr, 0
	.set _Z19shuffle_down_kernelILj64E6__halfEvPT0_j.numbered_sgpr, 7
	.set _Z19shuffle_down_kernelILj64E6__halfEvPT0_j.num_named_barrier, 0
	.set _Z19shuffle_down_kernelILj64E6__halfEvPT0_j.private_seg_size, 0
	.set _Z19shuffle_down_kernelILj64E6__halfEvPT0_j.uses_vcc, 1
	.set _Z19shuffle_down_kernelILj64E6__halfEvPT0_j.uses_flat_scratch, 0
	.set _Z19shuffle_down_kernelILj64E6__halfEvPT0_j.has_dyn_sized_stack, 0
	.set _Z19shuffle_down_kernelILj64E6__halfEvPT0_j.has_recursion, 0
	.set _Z19shuffle_down_kernelILj64E6__halfEvPT0_j.has_indirect_call, 0
	.section	.AMDGPU.csdata,"",@progbits
; Kernel info:
; codeLenInByte = 160
; TotalNumSgprs: 9
; NumVgprs: 4
; ScratchSize: 0
; MemoryBound: 0
; FloatMode: 240
; IeeeMode: 1
; LDSByteSize: 0 bytes/workgroup (compile time only)
; SGPRBlocks: 0
; VGPRBlocks: 0
; NumSGPRsForWavesPerEU: 9
; NumVGPRsForWavesPerEU: 4
; NamedBarCnt: 0
; Occupancy: 16
; WaveLimiterHint : 0
; COMPUTE_PGM_RSRC2:SCRATCH_EN: 0
; COMPUTE_PGM_RSRC2:USER_SGPR: 2
; COMPUTE_PGM_RSRC2:TRAP_HANDLER: 0
; COMPUTE_PGM_RSRC2:TGID_X_EN: 1
; COMPUTE_PGM_RSRC2:TGID_Y_EN: 0
; COMPUTE_PGM_RSRC2:TGID_Z_EN: 0
; COMPUTE_PGM_RSRC2:TIDIG_COMP_CNT: 0
	.section	.text._Z19shuffle_down_kernelILj64EhEvPT0_j,"axG",@progbits,_Z19shuffle_down_kernelILj64EhEvPT0_j,comdat
	.protected	_Z19shuffle_down_kernelILj64EhEvPT0_j ; -- Begin function _Z19shuffle_down_kernelILj64EhEvPT0_j
	.globl	_Z19shuffle_down_kernelILj64EhEvPT0_j
	.p2align	8
	.type	_Z19shuffle_down_kernelILj64EhEvPT0_j,@function
_Z19shuffle_down_kernelILj64EhEvPT0_j:  ; @_Z19shuffle_down_kernelILj64EhEvPT0_j
; %bb.0:
	s_clause 0x1
	s_load_b32 s2, s[0:1], 0x1c
	s_load_b96 s[4:6], s[0:1], 0x0
	s_wait_xcnt 0x0
	s_bfe_u32 s0, ttmp6, 0x4000c
	s_and_b32 s1, ttmp6, 15
	s_add_co_i32 s0, s0, 1
	s_getreg_b32 s3, hwreg(HW_REG_IB_STS2, 6, 4)
	s_mul_i32 s0, ttmp9, s0
	v_mbcnt_lo_u32_b32 v2, -1, 0
	s_add_co_i32 s1, s1, s0
	s_wait_kmcnt 0x0
	s_and_b32 s2, s2, 0xffff
	s_cmp_eq_u32 s3, 0
	v_add_nc_u32_e32 v3, s6, v2
	s_cselect_b32 s0, ttmp9, s1
	s_delay_alu instid0(SALU_CYCLE_1) | instskip(NEXT) | instid1(VALU_DEP_2)
	v_mad_u32 v0, s0, s2, v0
	v_cmp_gt_i32_e32 vcc_lo, 64, v3
	v_cndmask_b32_e64 v3, 0, s6, vcc_lo
	global_load_u8 v1, v0, s[4:5]
	v_add_lshl_u32 v2, v3, v2, 2
	s_wait_loadcnt 0x0
	ds_bpermute_b32 v1, v2, v1
	s_wait_dscnt 0x0
	global_store_b8 v0, v1, s[4:5]
	s_endpgm
	.section	.rodata,"a",@progbits
	.p2align	6, 0x0
	.amdhsa_kernel _Z19shuffle_down_kernelILj64EhEvPT0_j
		.amdhsa_group_segment_fixed_size 0
		.amdhsa_private_segment_fixed_size 0
		.amdhsa_kernarg_size 272
		.amdhsa_user_sgpr_count 2
		.amdhsa_user_sgpr_dispatch_ptr 0
		.amdhsa_user_sgpr_queue_ptr 0
		.amdhsa_user_sgpr_kernarg_segment_ptr 1
		.amdhsa_user_sgpr_dispatch_id 0
		.amdhsa_user_sgpr_kernarg_preload_length 0
		.amdhsa_user_sgpr_kernarg_preload_offset 0
		.amdhsa_user_sgpr_private_segment_size 0
		.amdhsa_wavefront_size32 1
		.amdhsa_uses_dynamic_stack 0
		.amdhsa_enable_private_segment 0
		.amdhsa_system_sgpr_workgroup_id_x 1
		.amdhsa_system_sgpr_workgroup_id_y 0
		.amdhsa_system_sgpr_workgroup_id_z 0
		.amdhsa_system_sgpr_workgroup_info 0
		.amdhsa_system_vgpr_workitem_id 0
		.amdhsa_next_free_vgpr 4
		.amdhsa_next_free_sgpr 7
		.amdhsa_named_barrier_count 0
		.amdhsa_reserve_vcc 1
		.amdhsa_float_round_mode_32 0
		.amdhsa_float_round_mode_16_64 0
		.amdhsa_float_denorm_mode_32 3
		.amdhsa_float_denorm_mode_16_64 3
		.amdhsa_fp16_overflow 0
		.amdhsa_memory_ordered 1
		.amdhsa_forward_progress 1
		.amdhsa_inst_pref_size 2
		.amdhsa_round_robin_scheduling 0
		.amdhsa_exception_fp_ieee_invalid_op 0
		.amdhsa_exception_fp_denorm_src 0
		.amdhsa_exception_fp_ieee_div_zero 0
		.amdhsa_exception_fp_ieee_overflow 0
		.amdhsa_exception_fp_ieee_underflow 0
		.amdhsa_exception_fp_ieee_inexact 0
		.amdhsa_exception_int_div_zero 0
	.end_amdhsa_kernel
	.section	.text._Z19shuffle_down_kernelILj64EhEvPT0_j,"axG",@progbits,_Z19shuffle_down_kernelILj64EhEvPT0_j,comdat
.Lfunc_end18:
	.size	_Z19shuffle_down_kernelILj64EhEvPT0_j, .Lfunc_end18-_Z19shuffle_down_kernelILj64EhEvPT0_j
                                        ; -- End function
	.set _Z19shuffle_down_kernelILj64EhEvPT0_j.num_vgpr, 4
	.set _Z19shuffle_down_kernelILj64EhEvPT0_j.num_agpr, 0
	.set _Z19shuffle_down_kernelILj64EhEvPT0_j.numbered_sgpr, 7
	.set _Z19shuffle_down_kernelILj64EhEvPT0_j.num_named_barrier, 0
	.set _Z19shuffle_down_kernelILj64EhEvPT0_j.private_seg_size, 0
	.set _Z19shuffle_down_kernelILj64EhEvPT0_j.uses_vcc, 1
	.set _Z19shuffle_down_kernelILj64EhEvPT0_j.uses_flat_scratch, 0
	.set _Z19shuffle_down_kernelILj64EhEvPT0_j.has_dyn_sized_stack, 0
	.set _Z19shuffle_down_kernelILj64EhEvPT0_j.has_recursion, 0
	.set _Z19shuffle_down_kernelILj64EhEvPT0_j.has_indirect_call, 0
	.section	.AMDGPU.csdata,"",@progbits
; Kernel info:
; codeLenInByte = 160
; TotalNumSgprs: 9
; NumVgprs: 4
; ScratchSize: 0
; MemoryBound: 0
; FloatMode: 240
; IeeeMode: 1
; LDSByteSize: 0 bytes/workgroup (compile time only)
; SGPRBlocks: 0
; VGPRBlocks: 0
; NumSGPRsForWavesPerEU: 9
; NumVGPRsForWavesPerEU: 4
; NamedBarCnt: 0
; Occupancy: 16
; WaveLimiterHint : 0
; COMPUTE_PGM_RSRC2:SCRATCH_EN: 0
; COMPUTE_PGM_RSRC2:USER_SGPR: 2
; COMPUTE_PGM_RSRC2:TRAP_HANDLER: 0
; COMPUTE_PGM_RSRC2:TGID_X_EN: 1
; COMPUTE_PGM_RSRC2:TGID_Y_EN: 0
; COMPUTE_PGM_RSRC2:TGID_Z_EN: 0
; COMPUTE_PGM_RSRC2:TIDIG_COMP_CNT: 0
	.section	.text._Z19shuffle_down_kernelILj64EdEvPT0_j,"axG",@progbits,_Z19shuffle_down_kernelILj64EdEvPT0_j,comdat
	.protected	_Z19shuffle_down_kernelILj64EdEvPT0_j ; -- Begin function _Z19shuffle_down_kernelILj64EdEvPT0_j
	.globl	_Z19shuffle_down_kernelILj64EdEvPT0_j
	.p2align	8
	.type	_Z19shuffle_down_kernelILj64EdEvPT0_j,@function
_Z19shuffle_down_kernelILj64EdEvPT0_j:  ; @_Z19shuffle_down_kernelILj64EdEvPT0_j
; %bb.0:
	s_load_b32 s3, s[0:1], 0x1c
	s_bfe_u32 s4, ttmp6, 0x4000c
	s_wait_xcnt 0x0
	s_load_b96 s[0:2], s[0:1], 0x0
	s_add_co_i32 s4, s4, 1
	s_and_b32 s5, ttmp6, 15
	s_mul_i32 s4, ttmp9, s4
	s_getreg_b32 s6, hwreg(HW_REG_IB_STS2, 6, 4)
	s_add_co_i32 s5, s5, s4
	v_mbcnt_lo_u32_b32 v3, -1, 0
	s_wait_kmcnt 0x0
	s_and_b32 s3, s3, 0xffff
	s_cmp_eq_u32 s6, 0
	s_delay_alu instid0(VALU_DEP_1) | instskip(SKIP_1) | instid1(SALU_CYCLE_1)
	v_add_nc_u32_e32 v4, s2, v3
	s_cselect_b32 s4, ttmp9, s5
	v_mad_u32 v2, s4, s3, v0
	s_delay_alu instid0(VALU_DEP_2)
	v_cmp_gt_i32_e32 vcc_lo, 64, v4
	v_cndmask_b32_e64 v4, 0, s2, vcc_lo
	global_load_b64 v[0:1], v2, s[0:1] scale_offset
	v_add_lshl_u32 v3, v4, v3, 2
	s_wait_loadcnt 0x0
	ds_bpermute_b32 v0, v3, v0
	ds_bpermute_b32 v1, v3, v1
	s_wait_dscnt 0x0
	global_store_b64 v2, v[0:1], s[0:1] scale_offset
	s_endpgm
	.section	.rodata,"a",@progbits
	.p2align	6, 0x0
	.amdhsa_kernel _Z19shuffle_down_kernelILj64EdEvPT0_j
		.amdhsa_group_segment_fixed_size 0
		.amdhsa_private_segment_fixed_size 0
		.amdhsa_kernarg_size 272
		.amdhsa_user_sgpr_count 2
		.amdhsa_user_sgpr_dispatch_ptr 0
		.amdhsa_user_sgpr_queue_ptr 0
		.amdhsa_user_sgpr_kernarg_segment_ptr 1
		.amdhsa_user_sgpr_dispatch_id 0
		.amdhsa_user_sgpr_kernarg_preload_length 0
		.amdhsa_user_sgpr_kernarg_preload_offset 0
		.amdhsa_user_sgpr_private_segment_size 0
		.amdhsa_wavefront_size32 1
		.amdhsa_uses_dynamic_stack 0
		.amdhsa_enable_private_segment 0
		.amdhsa_system_sgpr_workgroup_id_x 1
		.amdhsa_system_sgpr_workgroup_id_y 0
		.amdhsa_system_sgpr_workgroup_id_z 0
		.amdhsa_system_sgpr_workgroup_info 0
		.amdhsa_system_vgpr_workitem_id 0
		.amdhsa_next_free_vgpr 5
		.amdhsa_next_free_sgpr 7
		.amdhsa_named_barrier_count 0
		.amdhsa_reserve_vcc 1
		.amdhsa_float_round_mode_32 0
		.amdhsa_float_round_mode_16_64 0
		.amdhsa_float_denorm_mode_32 3
		.amdhsa_float_denorm_mode_16_64 3
		.amdhsa_fp16_overflow 0
		.amdhsa_memory_ordered 1
		.amdhsa_forward_progress 1
		.amdhsa_inst_pref_size 2
		.amdhsa_round_robin_scheduling 0
		.amdhsa_exception_fp_ieee_invalid_op 0
		.amdhsa_exception_fp_denorm_src 0
		.amdhsa_exception_fp_ieee_div_zero 0
		.amdhsa_exception_fp_ieee_overflow 0
		.amdhsa_exception_fp_ieee_underflow 0
		.amdhsa_exception_fp_ieee_inexact 0
		.amdhsa_exception_int_div_zero 0
	.end_amdhsa_kernel
	.section	.text._Z19shuffle_down_kernelILj64EdEvPT0_j,"axG",@progbits,_Z19shuffle_down_kernelILj64EdEvPT0_j,comdat
.Lfunc_end19:
	.size	_Z19shuffle_down_kernelILj64EdEvPT0_j, .Lfunc_end19-_Z19shuffle_down_kernelILj64EdEvPT0_j
                                        ; -- End function
	.set _Z19shuffle_down_kernelILj64EdEvPT0_j.num_vgpr, 5
	.set _Z19shuffle_down_kernelILj64EdEvPT0_j.num_agpr, 0
	.set _Z19shuffle_down_kernelILj64EdEvPT0_j.numbered_sgpr, 7
	.set _Z19shuffle_down_kernelILj64EdEvPT0_j.num_named_barrier, 0
	.set _Z19shuffle_down_kernelILj64EdEvPT0_j.private_seg_size, 0
	.set _Z19shuffle_down_kernelILj64EdEvPT0_j.uses_vcc, 1
	.set _Z19shuffle_down_kernelILj64EdEvPT0_j.uses_flat_scratch, 0
	.set _Z19shuffle_down_kernelILj64EdEvPT0_j.has_dyn_sized_stack, 0
	.set _Z19shuffle_down_kernelILj64EdEvPT0_j.has_recursion, 0
	.set _Z19shuffle_down_kernelILj64EdEvPT0_j.has_indirect_call, 0
	.section	.AMDGPU.csdata,"",@progbits
; Kernel info:
; codeLenInByte = 168
; TotalNumSgprs: 9
; NumVgprs: 5
; ScratchSize: 0
; MemoryBound: 0
; FloatMode: 240
; IeeeMode: 1
; LDSByteSize: 0 bytes/workgroup (compile time only)
; SGPRBlocks: 0
; VGPRBlocks: 0
; NumSGPRsForWavesPerEU: 9
; NumVGPRsForWavesPerEU: 5
; NamedBarCnt: 0
; Occupancy: 16
; WaveLimiterHint : 0
; COMPUTE_PGM_RSRC2:SCRATCH_EN: 0
; COMPUTE_PGM_RSRC2:USER_SGPR: 2
; COMPUTE_PGM_RSRC2:TRAP_HANDLER: 0
; COMPUTE_PGM_RSRC2:TGID_X_EN: 1
; COMPUTE_PGM_RSRC2:TGID_Y_EN: 0
; COMPUTE_PGM_RSRC2:TGID_Z_EN: 0
; COMPUTE_PGM_RSRC2:TIDIG_COMP_CNT: 0
	.section	.text._Z19shuffle_down_kernelILj64EfEvPT0_j,"axG",@progbits,_Z19shuffle_down_kernelILj64EfEvPT0_j,comdat
	.protected	_Z19shuffle_down_kernelILj64EfEvPT0_j ; -- Begin function _Z19shuffle_down_kernelILj64EfEvPT0_j
	.globl	_Z19shuffle_down_kernelILj64EfEvPT0_j
	.p2align	8
	.type	_Z19shuffle_down_kernelILj64EfEvPT0_j,@function
_Z19shuffle_down_kernelILj64EfEvPT0_j:  ; @_Z19shuffle_down_kernelILj64EfEvPT0_j
; %bb.0:
	s_clause 0x1
	s_load_b32 s2, s[0:1], 0x1c
	s_load_b96 s[4:6], s[0:1], 0x0
	s_wait_xcnt 0x0
	s_bfe_u32 s0, ttmp6, 0x4000c
	s_and_b32 s1, ttmp6, 15
	s_add_co_i32 s0, s0, 1
	s_getreg_b32 s3, hwreg(HW_REG_IB_STS2, 6, 4)
	s_mul_i32 s0, ttmp9, s0
	v_mbcnt_lo_u32_b32 v2, -1, 0
	s_add_co_i32 s1, s1, s0
	s_wait_kmcnt 0x0
	s_and_b32 s2, s2, 0xffff
	s_cmp_eq_u32 s3, 0
	v_add_nc_u32_e32 v3, s6, v2
	s_cselect_b32 s0, ttmp9, s1
	s_delay_alu instid0(SALU_CYCLE_1) | instskip(NEXT) | instid1(VALU_DEP_2)
	v_mad_u32 v0, s0, s2, v0
	v_cmp_gt_i32_e32 vcc_lo, 64, v3
	v_cndmask_b32_e64 v3, 0, s6, vcc_lo
	global_load_b32 v1, v0, s[4:5] scale_offset
	v_add_lshl_u32 v2, v3, v2, 2
	s_wait_loadcnt 0x0
	ds_bpermute_b32 v1, v2, v1
	s_wait_dscnt 0x0
	global_store_b32 v0, v1, s[4:5] scale_offset
	s_endpgm
	.section	.rodata,"a",@progbits
	.p2align	6, 0x0
	.amdhsa_kernel _Z19shuffle_down_kernelILj64EfEvPT0_j
		.amdhsa_group_segment_fixed_size 0
		.amdhsa_private_segment_fixed_size 0
		.amdhsa_kernarg_size 272
		.amdhsa_user_sgpr_count 2
		.amdhsa_user_sgpr_dispatch_ptr 0
		.amdhsa_user_sgpr_queue_ptr 0
		.amdhsa_user_sgpr_kernarg_segment_ptr 1
		.amdhsa_user_sgpr_dispatch_id 0
		.amdhsa_user_sgpr_kernarg_preload_length 0
		.amdhsa_user_sgpr_kernarg_preload_offset 0
		.amdhsa_user_sgpr_private_segment_size 0
		.amdhsa_wavefront_size32 1
		.amdhsa_uses_dynamic_stack 0
		.amdhsa_enable_private_segment 0
		.amdhsa_system_sgpr_workgroup_id_x 1
		.amdhsa_system_sgpr_workgroup_id_y 0
		.amdhsa_system_sgpr_workgroup_id_z 0
		.amdhsa_system_sgpr_workgroup_info 0
		.amdhsa_system_vgpr_workitem_id 0
		.amdhsa_next_free_vgpr 4
		.amdhsa_next_free_sgpr 7
		.amdhsa_named_barrier_count 0
		.amdhsa_reserve_vcc 1
		.amdhsa_float_round_mode_32 0
		.amdhsa_float_round_mode_16_64 0
		.amdhsa_float_denorm_mode_32 3
		.amdhsa_float_denorm_mode_16_64 3
		.amdhsa_fp16_overflow 0
		.amdhsa_memory_ordered 1
		.amdhsa_forward_progress 1
		.amdhsa_inst_pref_size 2
		.amdhsa_round_robin_scheduling 0
		.amdhsa_exception_fp_ieee_invalid_op 0
		.amdhsa_exception_fp_denorm_src 0
		.amdhsa_exception_fp_ieee_div_zero 0
		.amdhsa_exception_fp_ieee_overflow 0
		.amdhsa_exception_fp_ieee_underflow 0
		.amdhsa_exception_fp_ieee_inexact 0
		.amdhsa_exception_int_div_zero 0
	.end_amdhsa_kernel
	.section	.text._Z19shuffle_down_kernelILj64EfEvPT0_j,"axG",@progbits,_Z19shuffle_down_kernelILj64EfEvPT0_j,comdat
.Lfunc_end20:
	.size	_Z19shuffle_down_kernelILj64EfEvPT0_j, .Lfunc_end20-_Z19shuffle_down_kernelILj64EfEvPT0_j
                                        ; -- End function
	.set _Z19shuffle_down_kernelILj64EfEvPT0_j.num_vgpr, 4
	.set _Z19shuffle_down_kernelILj64EfEvPT0_j.num_agpr, 0
	.set _Z19shuffle_down_kernelILj64EfEvPT0_j.numbered_sgpr, 7
	.set _Z19shuffle_down_kernelILj64EfEvPT0_j.num_named_barrier, 0
	.set _Z19shuffle_down_kernelILj64EfEvPT0_j.private_seg_size, 0
	.set _Z19shuffle_down_kernelILj64EfEvPT0_j.uses_vcc, 1
	.set _Z19shuffle_down_kernelILj64EfEvPT0_j.uses_flat_scratch, 0
	.set _Z19shuffle_down_kernelILj64EfEvPT0_j.has_dyn_sized_stack, 0
	.set _Z19shuffle_down_kernelILj64EfEvPT0_j.has_recursion, 0
	.set _Z19shuffle_down_kernelILj64EfEvPT0_j.has_indirect_call, 0
	.section	.AMDGPU.csdata,"",@progbits
; Kernel info:
; codeLenInByte = 160
; TotalNumSgprs: 9
; NumVgprs: 4
; ScratchSize: 0
; MemoryBound: 0
; FloatMode: 240
; IeeeMode: 1
; LDSByteSize: 0 bytes/workgroup (compile time only)
; SGPRBlocks: 0
; VGPRBlocks: 0
; NumSGPRsForWavesPerEU: 9
; NumVGPRsForWavesPerEU: 4
; NamedBarCnt: 0
; Occupancy: 16
; WaveLimiterHint : 0
; COMPUTE_PGM_RSRC2:SCRATCH_EN: 0
; COMPUTE_PGM_RSRC2:USER_SGPR: 2
; COMPUTE_PGM_RSRC2:TRAP_HANDLER: 0
; COMPUTE_PGM_RSRC2:TGID_X_EN: 1
; COMPUTE_PGM_RSRC2:TGID_Y_EN: 0
; COMPUTE_PGM_RSRC2:TGID_Z_EN: 0
; COMPUTE_PGM_RSRC2:TIDIG_COMP_CNT: 0
	.section	.text._Z19shuffle_down_kernelILj32EhEvPT0_j,"axG",@progbits,_Z19shuffle_down_kernelILj32EhEvPT0_j,comdat
	.protected	_Z19shuffle_down_kernelILj32EhEvPT0_j ; -- Begin function _Z19shuffle_down_kernelILj32EhEvPT0_j
	.globl	_Z19shuffle_down_kernelILj32EhEvPT0_j
	.p2align	8
	.type	_Z19shuffle_down_kernelILj32EhEvPT0_j,@function
_Z19shuffle_down_kernelILj32EhEvPT0_j:  ; @_Z19shuffle_down_kernelILj32EhEvPT0_j
; %bb.0:
	s_clause 0x1
	s_load_b32 s2, s[0:1], 0x1c
	s_load_b96 s[4:6], s[0:1], 0x0
	s_wait_xcnt 0x0
	s_bfe_u32 s0, ttmp6, 0x4000c
	s_and_b32 s1, ttmp6, 15
	s_add_co_i32 s0, s0, 1
	s_getreg_b32 s3, hwreg(HW_REG_IB_STS2, 6, 4)
	s_mul_i32 s0, ttmp9, s0
	v_mbcnt_lo_u32_b32 v2, -1, 0
	s_add_co_i32 s1, s1, s0
	s_wait_kmcnt 0x0
	s_and_b32 s2, s2, 0xffff
	s_cmp_eq_u32 s3, 0
	v_add_nc_u32_e32 v3, s6, v2
	s_cselect_b32 s0, ttmp9, s1
	s_delay_alu instid0(SALU_CYCLE_1) | instskip(NEXT) | instid1(VALU_DEP_2)
	v_mad_u32 v0, s0, s2, v0
	v_cmp_gt_i32_e32 vcc_lo, 32, v3
	v_cndmask_b32_e64 v3, 0, s6, vcc_lo
	global_load_u8 v1, v0, s[4:5]
	v_add_lshl_u32 v2, v3, v2, 2
	s_wait_loadcnt 0x0
	ds_bpermute_b32 v1, v2, v1
	s_wait_dscnt 0x0
	global_store_b8 v0, v1, s[4:5]
	s_endpgm
	.section	.rodata,"a",@progbits
	.p2align	6, 0x0
	.amdhsa_kernel _Z19shuffle_down_kernelILj32EhEvPT0_j
		.amdhsa_group_segment_fixed_size 0
		.amdhsa_private_segment_fixed_size 0
		.amdhsa_kernarg_size 272
		.amdhsa_user_sgpr_count 2
		.amdhsa_user_sgpr_dispatch_ptr 0
		.amdhsa_user_sgpr_queue_ptr 0
		.amdhsa_user_sgpr_kernarg_segment_ptr 1
		.amdhsa_user_sgpr_dispatch_id 0
		.amdhsa_user_sgpr_kernarg_preload_length 0
		.amdhsa_user_sgpr_kernarg_preload_offset 0
		.amdhsa_user_sgpr_private_segment_size 0
		.amdhsa_wavefront_size32 1
		.amdhsa_uses_dynamic_stack 0
		.amdhsa_enable_private_segment 0
		.amdhsa_system_sgpr_workgroup_id_x 1
		.amdhsa_system_sgpr_workgroup_id_y 0
		.amdhsa_system_sgpr_workgroup_id_z 0
		.amdhsa_system_sgpr_workgroup_info 0
		.amdhsa_system_vgpr_workitem_id 0
		.amdhsa_next_free_vgpr 4
		.amdhsa_next_free_sgpr 7
		.amdhsa_named_barrier_count 0
		.amdhsa_reserve_vcc 1
		.amdhsa_float_round_mode_32 0
		.amdhsa_float_round_mode_16_64 0
		.amdhsa_float_denorm_mode_32 3
		.amdhsa_float_denorm_mode_16_64 3
		.amdhsa_fp16_overflow 0
		.amdhsa_memory_ordered 1
		.amdhsa_forward_progress 1
		.amdhsa_inst_pref_size 2
		.amdhsa_round_robin_scheduling 0
		.amdhsa_exception_fp_ieee_invalid_op 0
		.amdhsa_exception_fp_denorm_src 0
		.amdhsa_exception_fp_ieee_div_zero 0
		.amdhsa_exception_fp_ieee_overflow 0
		.amdhsa_exception_fp_ieee_underflow 0
		.amdhsa_exception_fp_ieee_inexact 0
		.amdhsa_exception_int_div_zero 0
	.end_amdhsa_kernel
	.section	.text._Z19shuffle_down_kernelILj32EhEvPT0_j,"axG",@progbits,_Z19shuffle_down_kernelILj32EhEvPT0_j,comdat
.Lfunc_end21:
	.size	_Z19shuffle_down_kernelILj32EhEvPT0_j, .Lfunc_end21-_Z19shuffle_down_kernelILj32EhEvPT0_j
                                        ; -- End function
	.set _Z19shuffle_down_kernelILj32EhEvPT0_j.num_vgpr, 4
	.set _Z19shuffle_down_kernelILj32EhEvPT0_j.num_agpr, 0
	.set _Z19shuffle_down_kernelILj32EhEvPT0_j.numbered_sgpr, 7
	.set _Z19shuffle_down_kernelILj32EhEvPT0_j.num_named_barrier, 0
	.set _Z19shuffle_down_kernelILj32EhEvPT0_j.private_seg_size, 0
	.set _Z19shuffle_down_kernelILj32EhEvPT0_j.uses_vcc, 1
	.set _Z19shuffle_down_kernelILj32EhEvPT0_j.uses_flat_scratch, 0
	.set _Z19shuffle_down_kernelILj32EhEvPT0_j.has_dyn_sized_stack, 0
	.set _Z19shuffle_down_kernelILj32EhEvPT0_j.has_recursion, 0
	.set _Z19shuffle_down_kernelILj32EhEvPT0_j.has_indirect_call, 0
	.section	.AMDGPU.csdata,"",@progbits
; Kernel info:
; codeLenInByte = 160
; TotalNumSgprs: 9
; NumVgprs: 4
; ScratchSize: 0
; MemoryBound: 0
; FloatMode: 240
; IeeeMode: 1
; LDSByteSize: 0 bytes/workgroup (compile time only)
; SGPRBlocks: 0
; VGPRBlocks: 0
; NumSGPRsForWavesPerEU: 9
; NumVGPRsForWavesPerEU: 4
; NamedBarCnt: 0
; Occupancy: 16
; WaveLimiterHint : 0
; COMPUTE_PGM_RSRC2:SCRATCH_EN: 0
; COMPUTE_PGM_RSRC2:USER_SGPR: 2
; COMPUTE_PGM_RSRC2:TRAP_HANDLER: 0
; COMPUTE_PGM_RSRC2:TGID_X_EN: 1
; COMPUTE_PGM_RSRC2:TGID_Y_EN: 0
; COMPUTE_PGM_RSRC2:TGID_Z_EN: 0
; COMPUTE_PGM_RSRC2:TIDIG_COMP_CNT: 0
	.section	.text._Z19shuffle_down_kernelILj32E12hip_bfloat16EvPT0_j,"axG",@progbits,_Z19shuffle_down_kernelILj32E12hip_bfloat16EvPT0_j,comdat
	.protected	_Z19shuffle_down_kernelILj32E12hip_bfloat16EvPT0_j ; -- Begin function _Z19shuffle_down_kernelILj32E12hip_bfloat16EvPT0_j
	.globl	_Z19shuffle_down_kernelILj32E12hip_bfloat16EvPT0_j
	.p2align	8
	.type	_Z19shuffle_down_kernelILj32E12hip_bfloat16EvPT0_j,@function
_Z19shuffle_down_kernelILj32E12hip_bfloat16EvPT0_j: ; @_Z19shuffle_down_kernelILj32E12hip_bfloat16EvPT0_j
; %bb.0:
	s_clause 0x1
	s_load_b32 s2, s[0:1], 0x1c
	s_load_b96 s[4:6], s[0:1], 0x0
	s_wait_xcnt 0x0
	s_bfe_u32 s0, ttmp6, 0x4000c
	s_and_b32 s1, ttmp6, 15
	s_add_co_i32 s0, s0, 1
	s_getreg_b32 s3, hwreg(HW_REG_IB_STS2, 6, 4)
	s_mul_i32 s0, ttmp9, s0
	v_mbcnt_lo_u32_b32 v2, -1, 0
	s_add_co_i32 s1, s1, s0
	s_wait_kmcnt 0x0
	s_and_b32 s2, s2, 0xffff
	s_cmp_eq_u32 s3, 0
	v_add_nc_u32_e32 v3, s6, v2
	s_cselect_b32 s0, ttmp9, s1
	s_delay_alu instid0(SALU_CYCLE_1) | instskip(NEXT) | instid1(VALU_DEP_2)
	v_mad_u32 v0, s0, s2, v0
	v_cmp_gt_i32_e32 vcc_lo, 32, v3
	v_cndmask_b32_e64 v3, 0, s6, vcc_lo
	global_load_u16 v1, v0, s[4:5] scale_offset
	v_add_lshl_u32 v2, v3, v2, 2
	s_wait_loadcnt 0x0
	ds_bpermute_b32 v1, v2, v1
	s_wait_dscnt 0x0
	global_store_b16 v0, v1, s[4:5] scale_offset
	s_endpgm
	.section	.rodata,"a",@progbits
	.p2align	6, 0x0
	.amdhsa_kernel _Z19shuffle_down_kernelILj32E12hip_bfloat16EvPT0_j
		.amdhsa_group_segment_fixed_size 0
		.amdhsa_private_segment_fixed_size 0
		.amdhsa_kernarg_size 272
		.amdhsa_user_sgpr_count 2
		.amdhsa_user_sgpr_dispatch_ptr 0
		.amdhsa_user_sgpr_queue_ptr 0
		.amdhsa_user_sgpr_kernarg_segment_ptr 1
		.amdhsa_user_sgpr_dispatch_id 0
		.amdhsa_user_sgpr_kernarg_preload_length 0
		.amdhsa_user_sgpr_kernarg_preload_offset 0
		.amdhsa_user_sgpr_private_segment_size 0
		.amdhsa_wavefront_size32 1
		.amdhsa_uses_dynamic_stack 0
		.amdhsa_enable_private_segment 0
		.amdhsa_system_sgpr_workgroup_id_x 1
		.amdhsa_system_sgpr_workgroup_id_y 0
		.amdhsa_system_sgpr_workgroup_id_z 0
		.amdhsa_system_sgpr_workgroup_info 0
		.amdhsa_system_vgpr_workitem_id 0
		.amdhsa_next_free_vgpr 4
		.amdhsa_next_free_sgpr 7
		.amdhsa_named_barrier_count 0
		.amdhsa_reserve_vcc 1
		.amdhsa_float_round_mode_32 0
		.amdhsa_float_round_mode_16_64 0
		.amdhsa_float_denorm_mode_32 3
		.amdhsa_float_denorm_mode_16_64 3
		.amdhsa_fp16_overflow 0
		.amdhsa_memory_ordered 1
		.amdhsa_forward_progress 1
		.amdhsa_inst_pref_size 2
		.amdhsa_round_robin_scheduling 0
		.amdhsa_exception_fp_ieee_invalid_op 0
		.amdhsa_exception_fp_denorm_src 0
		.amdhsa_exception_fp_ieee_div_zero 0
		.amdhsa_exception_fp_ieee_overflow 0
		.amdhsa_exception_fp_ieee_underflow 0
		.amdhsa_exception_fp_ieee_inexact 0
		.amdhsa_exception_int_div_zero 0
	.end_amdhsa_kernel
	.section	.text._Z19shuffle_down_kernelILj32E12hip_bfloat16EvPT0_j,"axG",@progbits,_Z19shuffle_down_kernelILj32E12hip_bfloat16EvPT0_j,comdat
.Lfunc_end22:
	.size	_Z19shuffle_down_kernelILj32E12hip_bfloat16EvPT0_j, .Lfunc_end22-_Z19shuffle_down_kernelILj32E12hip_bfloat16EvPT0_j
                                        ; -- End function
	.set _Z19shuffle_down_kernelILj32E12hip_bfloat16EvPT0_j.num_vgpr, 4
	.set _Z19shuffle_down_kernelILj32E12hip_bfloat16EvPT0_j.num_agpr, 0
	.set _Z19shuffle_down_kernelILj32E12hip_bfloat16EvPT0_j.numbered_sgpr, 7
	.set _Z19shuffle_down_kernelILj32E12hip_bfloat16EvPT0_j.num_named_barrier, 0
	.set _Z19shuffle_down_kernelILj32E12hip_bfloat16EvPT0_j.private_seg_size, 0
	.set _Z19shuffle_down_kernelILj32E12hip_bfloat16EvPT0_j.uses_vcc, 1
	.set _Z19shuffle_down_kernelILj32E12hip_bfloat16EvPT0_j.uses_flat_scratch, 0
	.set _Z19shuffle_down_kernelILj32E12hip_bfloat16EvPT0_j.has_dyn_sized_stack, 0
	.set _Z19shuffle_down_kernelILj32E12hip_bfloat16EvPT0_j.has_recursion, 0
	.set _Z19shuffle_down_kernelILj32E12hip_bfloat16EvPT0_j.has_indirect_call, 0
	.section	.AMDGPU.csdata,"",@progbits
; Kernel info:
; codeLenInByte = 160
; TotalNumSgprs: 9
; NumVgprs: 4
; ScratchSize: 0
; MemoryBound: 0
; FloatMode: 240
; IeeeMode: 1
; LDSByteSize: 0 bytes/workgroup (compile time only)
; SGPRBlocks: 0
; VGPRBlocks: 0
; NumSGPRsForWavesPerEU: 9
; NumVGPRsForWavesPerEU: 4
; NamedBarCnt: 0
; Occupancy: 16
; WaveLimiterHint : 0
; COMPUTE_PGM_RSRC2:SCRATCH_EN: 0
; COMPUTE_PGM_RSRC2:USER_SGPR: 2
; COMPUTE_PGM_RSRC2:TRAP_HANDLER: 0
; COMPUTE_PGM_RSRC2:TGID_X_EN: 1
; COMPUTE_PGM_RSRC2:TGID_Y_EN: 0
; COMPUTE_PGM_RSRC2:TGID_Z_EN: 0
; COMPUTE_PGM_RSRC2:TIDIG_COMP_CNT: 0
	.section	.text._Z19shuffle_down_kernelILj32E6__halfEvPT0_j,"axG",@progbits,_Z19shuffle_down_kernelILj32E6__halfEvPT0_j,comdat
	.protected	_Z19shuffle_down_kernelILj32E6__halfEvPT0_j ; -- Begin function _Z19shuffle_down_kernelILj32E6__halfEvPT0_j
	.globl	_Z19shuffle_down_kernelILj32E6__halfEvPT0_j
	.p2align	8
	.type	_Z19shuffle_down_kernelILj32E6__halfEvPT0_j,@function
_Z19shuffle_down_kernelILj32E6__halfEvPT0_j: ; @_Z19shuffle_down_kernelILj32E6__halfEvPT0_j
; %bb.0:
	s_clause 0x1
	s_load_b32 s2, s[0:1], 0x1c
	s_load_b96 s[4:6], s[0:1], 0x0
	s_wait_xcnt 0x0
	s_bfe_u32 s0, ttmp6, 0x4000c
	s_and_b32 s1, ttmp6, 15
	s_add_co_i32 s0, s0, 1
	s_getreg_b32 s3, hwreg(HW_REG_IB_STS2, 6, 4)
	s_mul_i32 s0, ttmp9, s0
	v_mbcnt_lo_u32_b32 v2, -1, 0
	s_add_co_i32 s1, s1, s0
	s_wait_kmcnt 0x0
	s_and_b32 s2, s2, 0xffff
	s_cmp_eq_u32 s3, 0
	v_add_nc_u32_e32 v3, s6, v2
	s_cselect_b32 s0, ttmp9, s1
	s_delay_alu instid0(SALU_CYCLE_1) | instskip(NEXT) | instid1(VALU_DEP_2)
	v_mad_u32 v0, s0, s2, v0
	v_cmp_gt_i32_e32 vcc_lo, 32, v3
	v_cndmask_b32_e64 v3, 0, s6, vcc_lo
	global_load_u16 v1, v0, s[4:5] scale_offset
	v_add_lshl_u32 v2, v3, v2, 2
	s_wait_loadcnt 0x0
	ds_bpermute_b32 v1, v2, v1
	s_wait_dscnt 0x0
	global_store_b16 v0, v1, s[4:5] scale_offset
	s_endpgm
	.section	.rodata,"a",@progbits
	.p2align	6, 0x0
	.amdhsa_kernel _Z19shuffle_down_kernelILj32E6__halfEvPT0_j
		.amdhsa_group_segment_fixed_size 0
		.amdhsa_private_segment_fixed_size 0
		.amdhsa_kernarg_size 272
		.amdhsa_user_sgpr_count 2
		.amdhsa_user_sgpr_dispatch_ptr 0
		.amdhsa_user_sgpr_queue_ptr 0
		.amdhsa_user_sgpr_kernarg_segment_ptr 1
		.amdhsa_user_sgpr_dispatch_id 0
		.amdhsa_user_sgpr_kernarg_preload_length 0
		.amdhsa_user_sgpr_kernarg_preload_offset 0
		.amdhsa_user_sgpr_private_segment_size 0
		.amdhsa_wavefront_size32 1
		.amdhsa_uses_dynamic_stack 0
		.amdhsa_enable_private_segment 0
		.amdhsa_system_sgpr_workgroup_id_x 1
		.amdhsa_system_sgpr_workgroup_id_y 0
		.amdhsa_system_sgpr_workgroup_id_z 0
		.amdhsa_system_sgpr_workgroup_info 0
		.amdhsa_system_vgpr_workitem_id 0
		.amdhsa_next_free_vgpr 4
		.amdhsa_next_free_sgpr 7
		.amdhsa_named_barrier_count 0
		.amdhsa_reserve_vcc 1
		.amdhsa_float_round_mode_32 0
		.amdhsa_float_round_mode_16_64 0
		.amdhsa_float_denorm_mode_32 3
		.amdhsa_float_denorm_mode_16_64 3
		.amdhsa_fp16_overflow 0
		.amdhsa_memory_ordered 1
		.amdhsa_forward_progress 1
		.amdhsa_inst_pref_size 2
		.amdhsa_round_robin_scheduling 0
		.amdhsa_exception_fp_ieee_invalid_op 0
		.amdhsa_exception_fp_denorm_src 0
		.amdhsa_exception_fp_ieee_div_zero 0
		.amdhsa_exception_fp_ieee_overflow 0
		.amdhsa_exception_fp_ieee_underflow 0
		.amdhsa_exception_fp_ieee_inexact 0
		.amdhsa_exception_int_div_zero 0
	.end_amdhsa_kernel
	.section	.text._Z19shuffle_down_kernelILj32E6__halfEvPT0_j,"axG",@progbits,_Z19shuffle_down_kernelILj32E6__halfEvPT0_j,comdat
.Lfunc_end23:
	.size	_Z19shuffle_down_kernelILj32E6__halfEvPT0_j, .Lfunc_end23-_Z19shuffle_down_kernelILj32E6__halfEvPT0_j
                                        ; -- End function
	.set _Z19shuffle_down_kernelILj32E6__halfEvPT0_j.num_vgpr, 4
	.set _Z19shuffle_down_kernelILj32E6__halfEvPT0_j.num_agpr, 0
	.set _Z19shuffle_down_kernelILj32E6__halfEvPT0_j.numbered_sgpr, 7
	.set _Z19shuffle_down_kernelILj32E6__halfEvPT0_j.num_named_barrier, 0
	.set _Z19shuffle_down_kernelILj32E6__halfEvPT0_j.private_seg_size, 0
	.set _Z19shuffle_down_kernelILj32E6__halfEvPT0_j.uses_vcc, 1
	.set _Z19shuffle_down_kernelILj32E6__halfEvPT0_j.uses_flat_scratch, 0
	.set _Z19shuffle_down_kernelILj32E6__halfEvPT0_j.has_dyn_sized_stack, 0
	.set _Z19shuffle_down_kernelILj32E6__halfEvPT0_j.has_recursion, 0
	.set _Z19shuffle_down_kernelILj32E6__halfEvPT0_j.has_indirect_call, 0
	.section	.AMDGPU.csdata,"",@progbits
; Kernel info:
; codeLenInByte = 160
; TotalNumSgprs: 9
; NumVgprs: 4
; ScratchSize: 0
; MemoryBound: 0
; FloatMode: 240
; IeeeMode: 1
; LDSByteSize: 0 bytes/workgroup (compile time only)
; SGPRBlocks: 0
; VGPRBlocks: 0
; NumSGPRsForWavesPerEU: 9
; NumVGPRsForWavesPerEU: 4
; NamedBarCnt: 0
; Occupancy: 16
; WaveLimiterHint : 0
; COMPUTE_PGM_RSRC2:SCRATCH_EN: 0
; COMPUTE_PGM_RSRC2:USER_SGPR: 2
; COMPUTE_PGM_RSRC2:TRAP_HANDLER: 0
; COMPUTE_PGM_RSRC2:TGID_X_EN: 1
; COMPUTE_PGM_RSRC2:TGID_Y_EN: 0
; COMPUTE_PGM_RSRC2:TGID_Z_EN: 0
; COMPUTE_PGM_RSRC2:TIDIG_COMP_CNT: 0
	.section	.text._Z19shuffle_down_kernelILj32EdEvPT0_j,"axG",@progbits,_Z19shuffle_down_kernelILj32EdEvPT0_j,comdat
	.protected	_Z19shuffle_down_kernelILj32EdEvPT0_j ; -- Begin function _Z19shuffle_down_kernelILj32EdEvPT0_j
	.globl	_Z19shuffle_down_kernelILj32EdEvPT0_j
	.p2align	8
	.type	_Z19shuffle_down_kernelILj32EdEvPT0_j,@function
_Z19shuffle_down_kernelILj32EdEvPT0_j:  ; @_Z19shuffle_down_kernelILj32EdEvPT0_j
; %bb.0:
	s_load_b32 s3, s[0:1], 0x1c
	s_bfe_u32 s4, ttmp6, 0x4000c
	s_wait_xcnt 0x0
	s_load_b96 s[0:2], s[0:1], 0x0
	s_add_co_i32 s4, s4, 1
	s_and_b32 s5, ttmp6, 15
	s_mul_i32 s4, ttmp9, s4
	s_getreg_b32 s6, hwreg(HW_REG_IB_STS2, 6, 4)
	s_add_co_i32 s5, s5, s4
	v_mbcnt_lo_u32_b32 v3, -1, 0
	s_wait_kmcnt 0x0
	s_and_b32 s3, s3, 0xffff
	s_cmp_eq_u32 s6, 0
	s_delay_alu instid0(VALU_DEP_1) | instskip(SKIP_1) | instid1(SALU_CYCLE_1)
	v_add_nc_u32_e32 v4, s2, v3
	s_cselect_b32 s4, ttmp9, s5
	v_mad_u32 v2, s4, s3, v0
	s_delay_alu instid0(VALU_DEP_2)
	v_cmp_gt_i32_e32 vcc_lo, 32, v4
	v_cndmask_b32_e64 v4, 0, s2, vcc_lo
	global_load_b64 v[0:1], v2, s[0:1] scale_offset
	v_add_lshl_u32 v3, v4, v3, 2
	s_wait_loadcnt 0x0
	ds_bpermute_b32 v0, v3, v0
	ds_bpermute_b32 v1, v3, v1
	s_wait_dscnt 0x0
	global_store_b64 v2, v[0:1], s[0:1] scale_offset
	s_endpgm
	.section	.rodata,"a",@progbits
	.p2align	6, 0x0
	.amdhsa_kernel _Z19shuffle_down_kernelILj32EdEvPT0_j
		.amdhsa_group_segment_fixed_size 0
		.amdhsa_private_segment_fixed_size 0
		.amdhsa_kernarg_size 272
		.amdhsa_user_sgpr_count 2
		.amdhsa_user_sgpr_dispatch_ptr 0
		.amdhsa_user_sgpr_queue_ptr 0
		.amdhsa_user_sgpr_kernarg_segment_ptr 1
		.amdhsa_user_sgpr_dispatch_id 0
		.amdhsa_user_sgpr_kernarg_preload_length 0
		.amdhsa_user_sgpr_kernarg_preload_offset 0
		.amdhsa_user_sgpr_private_segment_size 0
		.amdhsa_wavefront_size32 1
		.amdhsa_uses_dynamic_stack 0
		.amdhsa_enable_private_segment 0
		.amdhsa_system_sgpr_workgroup_id_x 1
		.amdhsa_system_sgpr_workgroup_id_y 0
		.amdhsa_system_sgpr_workgroup_id_z 0
		.amdhsa_system_sgpr_workgroup_info 0
		.amdhsa_system_vgpr_workitem_id 0
		.amdhsa_next_free_vgpr 5
		.amdhsa_next_free_sgpr 7
		.amdhsa_named_barrier_count 0
		.amdhsa_reserve_vcc 1
		.amdhsa_float_round_mode_32 0
		.amdhsa_float_round_mode_16_64 0
		.amdhsa_float_denorm_mode_32 3
		.amdhsa_float_denorm_mode_16_64 3
		.amdhsa_fp16_overflow 0
		.amdhsa_memory_ordered 1
		.amdhsa_forward_progress 1
		.amdhsa_inst_pref_size 2
		.amdhsa_round_robin_scheduling 0
		.amdhsa_exception_fp_ieee_invalid_op 0
		.amdhsa_exception_fp_denorm_src 0
		.amdhsa_exception_fp_ieee_div_zero 0
		.amdhsa_exception_fp_ieee_overflow 0
		.amdhsa_exception_fp_ieee_underflow 0
		.amdhsa_exception_fp_ieee_inexact 0
		.amdhsa_exception_int_div_zero 0
	.end_amdhsa_kernel
	.section	.text._Z19shuffle_down_kernelILj32EdEvPT0_j,"axG",@progbits,_Z19shuffle_down_kernelILj32EdEvPT0_j,comdat
.Lfunc_end24:
	.size	_Z19shuffle_down_kernelILj32EdEvPT0_j, .Lfunc_end24-_Z19shuffle_down_kernelILj32EdEvPT0_j
                                        ; -- End function
	.set _Z19shuffle_down_kernelILj32EdEvPT0_j.num_vgpr, 5
	.set _Z19shuffle_down_kernelILj32EdEvPT0_j.num_agpr, 0
	.set _Z19shuffle_down_kernelILj32EdEvPT0_j.numbered_sgpr, 7
	.set _Z19shuffle_down_kernelILj32EdEvPT0_j.num_named_barrier, 0
	.set _Z19shuffle_down_kernelILj32EdEvPT0_j.private_seg_size, 0
	.set _Z19shuffle_down_kernelILj32EdEvPT0_j.uses_vcc, 1
	.set _Z19shuffle_down_kernelILj32EdEvPT0_j.uses_flat_scratch, 0
	.set _Z19shuffle_down_kernelILj32EdEvPT0_j.has_dyn_sized_stack, 0
	.set _Z19shuffle_down_kernelILj32EdEvPT0_j.has_recursion, 0
	.set _Z19shuffle_down_kernelILj32EdEvPT0_j.has_indirect_call, 0
	.section	.AMDGPU.csdata,"",@progbits
; Kernel info:
; codeLenInByte = 168
; TotalNumSgprs: 9
; NumVgprs: 5
; ScratchSize: 0
; MemoryBound: 0
; FloatMode: 240
; IeeeMode: 1
; LDSByteSize: 0 bytes/workgroup (compile time only)
; SGPRBlocks: 0
; VGPRBlocks: 0
; NumSGPRsForWavesPerEU: 9
; NumVGPRsForWavesPerEU: 5
; NamedBarCnt: 0
; Occupancy: 16
; WaveLimiterHint : 0
; COMPUTE_PGM_RSRC2:SCRATCH_EN: 0
; COMPUTE_PGM_RSRC2:USER_SGPR: 2
; COMPUTE_PGM_RSRC2:TRAP_HANDLER: 0
; COMPUTE_PGM_RSRC2:TGID_X_EN: 1
; COMPUTE_PGM_RSRC2:TGID_Y_EN: 0
; COMPUTE_PGM_RSRC2:TGID_Z_EN: 0
; COMPUTE_PGM_RSRC2:TIDIG_COMP_CNT: 0
	.section	.text._Z19shuffle_down_kernelILj32EfEvPT0_j,"axG",@progbits,_Z19shuffle_down_kernelILj32EfEvPT0_j,comdat
	.protected	_Z19shuffle_down_kernelILj32EfEvPT0_j ; -- Begin function _Z19shuffle_down_kernelILj32EfEvPT0_j
	.globl	_Z19shuffle_down_kernelILj32EfEvPT0_j
	.p2align	8
	.type	_Z19shuffle_down_kernelILj32EfEvPT0_j,@function
_Z19shuffle_down_kernelILj32EfEvPT0_j:  ; @_Z19shuffle_down_kernelILj32EfEvPT0_j
; %bb.0:
	s_clause 0x1
	s_load_b32 s2, s[0:1], 0x1c
	s_load_b96 s[4:6], s[0:1], 0x0
	s_wait_xcnt 0x0
	s_bfe_u32 s0, ttmp6, 0x4000c
	s_and_b32 s1, ttmp6, 15
	s_add_co_i32 s0, s0, 1
	s_getreg_b32 s3, hwreg(HW_REG_IB_STS2, 6, 4)
	s_mul_i32 s0, ttmp9, s0
	v_mbcnt_lo_u32_b32 v2, -1, 0
	s_add_co_i32 s1, s1, s0
	s_wait_kmcnt 0x0
	s_and_b32 s2, s2, 0xffff
	s_cmp_eq_u32 s3, 0
	v_add_nc_u32_e32 v3, s6, v2
	s_cselect_b32 s0, ttmp9, s1
	s_delay_alu instid0(SALU_CYCLE_1) | instskip(NEXT) | instid1(VALU_DEP_2)
	v_mad_u32 v0, s0, s2, v0
	v_cmp_gt_i32_e32 vcc_lo, 32, v3
	v_cndmask_b32_e64 v3, 0, s6, vcc_lo
	global_load_b32 v1, v0, s[4:5] scale_offset
	v_add_lshl_u32 v2, v3, v2, 2
	s_wait_loadcnt 0x0
	ds_bpermute_b32 v1, v2, v1
	s_wait_dscnt 0x0
	global_store_b32 v0, v1, s[4:5] scale_offset
	s_endpgm
	.section	.rodata,"a",@progbits
	.p2align	6, 0x0
	.amdhsa_kernel _Z19shuffle_down_kernelILj32EfEvPT0_j
		.amdhsa_group_segment_fixed_size 0
		.amdhsa_private_segment_fixed_size 0
		.amdhsa_kernarg_size 272
		.amdhsa_user_sgpr_count 2
		.amdhsa_user_sgpr_dispatch_ptr 0
		.amdhsa_user_sgpr_queue_ptr 0
		.amdhsa_user_sgpr_kernarg_segment_ptr 1
		.amdhsa_user_sgpr_dispatch_id 0
		.amdhsa_user_sgpr_kernarg_preload_length 0
		.amdhsa_user_sgpr_kernarg_preload_offset 0
		.amdhsa_user_sgpr_private_segment_size 0
		.amdhsa_wavefront_size32 1
		.amdhsa_uses_dynamic_stack 0
		.amdhsa_enable_private_segment 0
		.amdhsa_system_sgpr_workgroup_id_x 1
		.amdhsa_system_sgpr_workgroup_id_y 0
		.amdhsa_system_sgpr_workgroup_id_z 0
		.amdhsa_system_sgpr_workgroup_info 0
		.amdhsa_system_vgpr_workitem_id 0
		.amdhsa_next_free_vgpr 4
		.amdhsa_next_free_sgpr 7
		.amdhsa_named_barrier_count 0
		.amdhsa_reserve_vcc 1
		.amdhsa_float_round_mode_32 0
		.amdhsa_float_round_mode_16_64 0
		.amdhsa_float_denorm_mode_32 3
		.amdhsa_float_denorm_mode_16_64 3
		.amdhsa_fp16_overflow 0
		.amdhsa_memory_ordered 1
		.amdhsa_forward_progress 1
		.amdhsa_inst_pref_size 2
		.amdhsa_round_robin_scheduling 0
		.amdhsa_exception_fp_ieee_invalid_op 0
		.amdhsa_exception_fp_denorm_src 0
		.amdhsa_exception_fp_ieee_div_zero 0
		.amdhsa_exception_fp_ieee_overflow 0
		.amdhsa_exception_fp_ieee_underflow 0
		.amdhsa_exception_fp_ieee_inexact 0
		.amdhsa_exception_int_div_zero 0
	.end_amdhsa_kernel
	.section	.text._Z19shuffle_down_kernelILj32EfEvPT0_j,"axG",@progbits,_Z19shuffle_down_kernelILj32EfEvPT0_j,comdat
.Lfunc_end25:
	.size	_Z19shuffle_down_kernelILj32EfEvPT0_j, .Lfunc_end25-_Z19shuffle_down_kernelILj32EfEvPT0_j
                                        ; -- End function
	.set _Z19shuffle_down_kernelILj32EfEvPT0_j.num_vgpr, 4
	.set _Z19shuffle_down_kernelILj32EfEvPT0_j.num_agpr, 0
	.set _Z19shuffle_down_kernelILj32EfEvPT0_j.numbered_sgpr, 7
	.set _Z19shuffle_down_kernelILj32EfEvPT0_j.num_named_barrier, 0
	.set _Z19shuffle_down_kernelILj32EfEvPT0_j.private_seg_size, 0
	.set _Z19shuffle_down_kernelILj32EfEvPT0_j.uses_vcc, 1
	.set _Z19shuffle_down_kernelILj32EfEvPT0_j.uses_flat_scratch, 0
	.set _Z19shuffle_down_kernelILj32EfEvPT0_j.has_dyn_sized_stack, 0
	.set _Z19shuffle_down_kernelILj32EfEvPT0_j.has_recursion, 0
	.set _Z19shuffle_down_kernelILj32EfEvPT0_j.has_indirect_call, 0
	.section	.AMDGPU.csdata,"",@progbits
; Kernel info:
; codeLenInByte = 160
; TotalNumSgprs: 9
; NumVgprs: 4
; ScratchSize: 0
; MemoryBound: 0
; FloatMode: 240
; IeeeMode: 1
; LDSByteSize: 0 bytes/workgroup (compile time only)
; SGPRBlocks: 0
; VGPRBlocks: 0
; NumSGPRsForWavesPerEU: 9
; NumVGPRsForWavesPerEU: 4
; NamedBarCnt: 0
; Occupancy: 16
; WaveLimiterHint : 0
; COMPUTE_PGM_RSRC2:SCRATCH_EN: 0
; COMPUTE_PGM_RSRC2:USER_SGPR: 2
; COMPUTE_PGM_RSRC2:TRAP_HANDLER: 0
; COMPUTE_PGM_RSRC2:TGID_X_EN: 1
; COMPUTE_PGM_RSRC2:TGID_Y_EN: 0
; COMPUTE_PGM_RSRC2:TGID_Z_EN: 0
; COMPUTE_PGM_RSRC2:TIDIG_COMP_CNT: 0
	.section	.text._Z19shuffle_down_kernelILj2EiEvPT0_j,"axG",@progbits,_Z19shuffle_down_kernelILj2EiEvPT0_j,comdat
	.protected	_Z19shuffle_down_kernelILj2EiEvPT0_j ; -- Begin function _Z19shuffle_down_kernelILj2EiEvPT0_j
	.globl	_Z19shuffle_down_kernelILj2EiEvPT0_j
	.p2align	8
	.type	_Z19shuffle_down_kernelILj2EiEvPT0_j,@function
_Z19shuffle_down_kernelILj2EiEvPT0_j:   ; @_Z19shuffle_down_kernelILj2EiEvPT0_j
; %bb.0:
	s_clause 0x1
	s_load_b32 s2, s[0:1], 0x1c
	s_load_b96 s[4:6], s[0:1], 0x0
	s_wait_xcnt 0x0
	s_bfe_u32 s0, ttmp6, 0x4000c
	s_and_b32 s1, ttmp6, 15
	s_add_co_i32 s0, s0, 1
	s_getreg_b32 s3, hwreg(HW_REG_IB_STS2, 6, 4)
	s_mul_i32 s0, ttmp9, s0
	v_mbcnt_lo_u32_b32 v2, -1, 0
	s_add_co_i32 s1, s1, s0
	s_delay_alu instid0(VALU_DEP_1) | instskip(SKIP_3) | instid1(VALU_DEP_1)
	v_and_b32_e32 v3, 1, v2
	s_wait_kmcnt 0x0
	s_and_b32 s2, s2, 0xffff
	s_cmp_eq_u32 s3, 0
	v_add_nc_u32_e32 v3, s6, v3
	s_cselect_b32 s0, ttmp9, s1
	s_delay_alu instid0(SALU_CYCLE_1) | instskip(NEXT) | instid1(VALU_DEP_2)
	v_mad_u32 v0, s0, s2, v0
	v_cmp_gt_i32_e32 vcc_lo, 2, v3
	v_cndmask_b32_e64 v3, 0, s6, vcc_lo
	global_load_b32 v1, v0, s[4:5] scale_offset
	v_add_lshl_u32 v2, v3, v2, 2
	s_wait_loadcnt 0x0
	ds_bpermute_b32 v1, v2, v1
	s_wait_dscnt 0x0
	global_store_b32 v0, v1, s[4:5] scale_offset
	s_endpgm
	.section	.rodata,"a",@progbits
	.p2align	6, 0x0
	.amdhsa_kernel _Z19shuffle_down_kernelILj2EiEvPT0_j
		.amdhsa_group_segment_fixed_size 0
		.amdhsa_private_segment_fixed_size 0
		.amdhsa_kernarg_size 272
		.amdhsa_user_sgpr_count 2
		.amdhsa_user_sgpr_dispatch_ptr 0
		.amdhsa_user_sgpr_queue_ptr 0
		.amdhsa_user_sgpr_kernarg_segment_ptr 1
		.amdhsa_user_sgpr_dispatch_id 0
		.amdhsa_user_sgpr_kernarg_preload_length 0
		.amdhsa_user_sgpr_kernarg_preload_offset 0
		.amdhsa_user_sgpr_private_segment_size 0
		.amdhsa_wavefront_size32 1
		.amdhsa_uses_dynamic_stack 0
		.amdhsa_enable_private_segment 0
		.amdhsa_system_sgpr_workgroup_id_x 1
		.amdhsa_system_sgpr_workgroup_id_y 0
		.amdhsa_system_sgpr_workgroup_id_z 0
		.amdhsa_system_sgpr_workgroup_info 0
		.amdhsa_system_vgpr_workitem_id 0
		.amdhsa_next_free_vgpr 4
		.amdhsa_next_free_sgpr 7
		.amdhsa_named_barrier_count 0
		.amdhsa_reserve_vcc 1
		.amdhsa_float_round_mode_32 0
		.amdhsa_float_round_mode_16_64 0
		.amdhsa_float_denorm_mode_32 3
		.amdhsa_float_denorm_mode_16_64 3
		.amdhsa_fp16_overflow 0
		.amdhsa_memory_ordered 1
		.amdhsa_forward_progress 1
		.amdhsa_inst_pref_size 2
		.amdhsa_round_robin_scheduling 0
		.amdhsa_exception_fp_ieee_invalid_op 0
		.amdhsa_exception_fp_denorm_src 0
		.amdhsa_exception_fp_ieee_div_zero 0
		.amdhsa_exception_fp_ieee_overflow 0
		.amdhsa_exception_fp_ieee_underflow 0
		.amdhsa_exception_fp_ieee_inexact 0
		.amdhsa_exception_int_div_zero 0
	.end_amdhsa_kernel
	.section	.text._Z19shuffle_down_kernelILj2EiEvPT0_j,"axG",@progbits,_Z19shuffle_down_kernelILj2EiEvPT0_j,comdat
.Lfunc_end26:
	.size	_Z19shuffle_down_kernelILj2EiEvPT0_j, .Lfunc_end26-_Z19shuffle_down_kernelILj2EiEvPT0_j
                                        ; -- End function
	.set _Z19shuffle_down_kernelILj2EiEvPT0_j.num_vgpr, 4
	.set _Z19shuffle_down_kernelILj2EiEvPT0_j.num_agpr, 0
	.set _Z19shuffle_down_kernelILj2EiEvPT0_j.numbered_sgpr, 7
	.set _Z19shuffle_down_kernelILj2EiEvPT0_j.num_named_barrier, 0
	.set _Z19shuffle_down_kernelILj2EiEvPT0_j.private_seg_size, 0
	.set _Z19shuffle_down_kernelILj2EiEvPT0_j.uses_vcc, 1
	.set _Z19shuffle_down_kernelILj2EiEvPT0_j.uses_flat_scratch, 0
	.set _Z19shuffle_down_kernelILj2EiEvPT0_j.has_dyn_sized_stack, 0
	.set _Z19shuffle_down_kernelILj2EiEvPT0_j.has_recursion, 0
	.set _Z19shuffle_down_kernelILj2EiEvPT0_j.has_indirect_call, 0
	.section	.AMDGPU.csdata,"",@progbits
; Kernel info:
; codeLenInByte = 168
; TotalNumSgprs: 9
; NumVgprs: 4
; ScratchSize: 0
; MemoryBound: 0
; FloatMode: 240
; IeeeMode: 1
; LDSByteSize: 0 bytes/workgroup (compile time only)
; SGPRBlocks: 0
; VGPRBlocks: 0
; NumSGPRsForWavesPerEU: 9
; NumVGPRsForWavesPerEU: 4
; NamedBarCnt: 0
; Occupancy: 16
; WaveLimiterHint : 0
; COMPUTE_PGM_RSRC2:SCRATCH_EN: 0
; COMPUTE_PGM_RSRC2:USER_SGPR: 2
; COMPUTE_PGM_RSRC2:TRAP_HANDLER: 0
; COMPUTE_PGM_RSRC2:TGID_X_EN: 1
; COMPUTE_PGM_RSRC2:TGID_Y_EN: 0
; COMPUTE_PGM_RSRC2:TGID_Z_EN: 0
; COMPUTE_PGM_RSRC2:TIDIG_COMP_CNT: 0
	.section	.text._Z19shuffle_down_kernelILj4EiEvPT0_j,"axG",@progbits,_Z19shuffle_down_kernelILj4EiEvPT0_j,comdat
	.protected	_Z19shuffle_down_kernelILj4EiEvPT0_j ; -- Begin function _Z19shuffle_down_kernelILj4EiEvPT0_j
	.globl	_Z19shuffle_down_kernelILj4EiEvPT0_j
	.p2align	8
	.type	_Z19shuffle_down_kernelILj4EiEvPT0_j,@function
_Z19shuffle_down_kernelILj4EiEvPT0_j:   ; @_Z19shuffle_down_kernelILj4EiEvPT0_j
; %bb.0:
	s_clause 0x1
	s_load_b32 s2, s[0:1], 0x1c
	s_load_b96 s[4:6], s[0:1], 0x0
	s_wait_xcnt 0x0
	s_bfe_u32 s0, ttmp6, 0x4000c
	s_and_b32 s1, ttmp6, 15
	s_add_co_i32 s0, s0, 1
	s_getreg_b32 s3, hwreg(HW_REG_IB_STS2, 6, 4)
	s_mul_i32 s0, ttmp9, s0
	v_mbcnt_lo_u32_b32 v2, -1, 0
	s_add_co_i32 s1, s1, s0
	s_delay_alu instid0(VALU_DEP_1) | instskip(SKIP_3) | instid1(VALU_DEP_1)
	v_and_b32_e32 v3, 3, v2
	s_wait_kmcnt 0x0
	s_and_b32 s2, s2, 0xffff
	s_cmp_eq_u32 s3, 0
	v_add_nc_u32_e32 v3, s6, v3
	s_cselect_b32 s0, ttmp9, s1
	s_delay_alu instid0(SALU_CYCLE_1) | instskip(NEXT) | instid1(VALU_DEP_2)
	v_mad_u32 v0, s0, s2, v0
	v_cmp_gt_i32_e32 vcc_lo, 4, v3
	v_cndmask_b32_e64 v3, 0, s6, vcc_lo
	global_load_b32 v1, v0, s[4:5] scale_offset
	v_add_lshl_u32 v2, v3, v2, 2
	s_wait_loadcnt 0x0
	ds_bpermute_b32 v1, v2, v1
	s_wait_dscnt 0x0
	global_store_b32 v0, v1, s[4:5] scale_offset
	s_endpgm
	.section	.rodata,"a",@progbits
	.p2align	6, 0x0
	.amdhsa_kernel _Z19shuffle_down_kernelILj4EiEvPT0_j
		.amdhsa_group_segment_fixed_size 0
		.amdhsa_private_segment_fixed_size 0
		.amdhsa_kernarg_size 272
		.amdhsa_user_sgpr_count 2
		.amdhsa_user_sgpr_dispatch_ptr 0
		.amdhsa_user_sgpr_queue_ptr 0
		.amdhsa_user_sgpr_kernarg_segment_ptr 1
		.amdhsa_user_sgpr_dispatch_id 0
		.amdhsa_user_sgpr_kernarg_preload_length 0
		.amdhsa_user_sgpr_kernarg_preload_offset 0
		.amdhsa_user_sgpr_private_segment_size 0
		.amdhsa_wavefront_size32 1
		.amdhsa_uses_dynamic_stack 0
		.amdhsa_enable_private_segment 0
		.amdhsa_system_sgpr_workgroup_id_x 1
		.amdhsa_system_sgpr_workgroup_id_y 0
		.amdhsa_system_sgpr_workgroup_id_z 0
		.amdhsa_system_sgpr_workgroup_info 0
		.amdhsa_system_vgpr_workitem_id 0
		.amdhsa_next_free_vgpr 4
		.amdhsa_next_free_sgpr 7
		.amdhsa_named_barrier_count 0
		.amdhsa_reserve_vcc 1
		.amdhsa_float_round_mode_32 0
		.amdhsa_float_round_mode_16_64 0
		.amdhsa_float_denorm_mode_32 3
		.amdhsa_float_denorm_mode_16_64 3
		.amdhsa_fp16_overflow 0
		.amdhsa_memory_ordered 1
		.amdhsa_forward_progress 1
		.amdhsa_inst_pref_size 2
		.amdhsa_round_robin_scheduling 0
		.amdhsa_exception_fp_ieee_invalid_op 0
		.amdhsa_exception_fp_denorm_src 0
		.amdhsa_exception_fp_ieee_div_zero 0
		.amdhsa_exception_fp_ieee_overflow 0
		.amdhsa_exception_fp_ieee_underflow 0
		.amdhsa_exception_fp_ieee_inexact 0
		.amdhsa_exception_int_div_zero 0
	.end_amdhsa_kernel
	.section	.text._Z19shuffle_down_kernelILj4EiEvPT0_j,"axG",@progbits,_Z19shuffle_down_kernelILj4EiEvPT0_j,comdat
.Lfunc_end27:
	.size	_Z19shuffle_down_kernelILj4EiEvPT0_j, .Lfunc_end27-_Z19shuffle_down_kernelILj4EiEvPT0_j
                                        ; -- End function
	.set _Z19shuffle_down_kernelILj4EiEvPT0_j.num_vgpr, 4
	.set _Z19shuffle_down_kernelILj4EiEvPT0_j.num_agpr, 0
	.set _Z19shuffle_down_kernelILj4EiEvPT0_j.numbered_sgpr, 7
	.set _Z19shuffle_down_kernelILj4EiEvPT0_j.num_named_barrier, 0
	.set _Z19shuffle_down_kernelILj4EiEvPT0_j.private_seg_size, 0
	.set _Z19shuffle_down_kernelILj4EiEvPT0_j.uses_vcc, 1
	.set _Z19shuffle_down_kernelILj4EiEvPT0_j.uses_flat_scratch, 0
	.set _Z19shuffle_down_kernelILj4EiEvPT0_j.has_dyn_sized_stack, 0
	.set _Z19shuffle_down_kernelILj4EiEvPT0_j.has_recursion, 0
	.set _Z19shuffle_down_kernelILj4EiEvPT0_j.has_indirect_call, 0
	.section	.AMDGPU.csdata,"",@progbits
; Kernel info:
; codeLenInByte = 168
; TotalNumSgprs: 9
; NumVgprs: 4
; ScratchSize: 0
; MemoryBound: 0
; FloatMode: 240
; IeeeMode: 1
; LDSByteSize: 0 bytes/workgroup (compile time only)
; SGPRBlocks: 0
; VGPRBlocks: 0
; NumSGPRsForWavesPerEU: 9
; NumVGPRsForWavesPerEU: 4
; NamedBarCnt: 0
; Occupancy: 16
; WaveLimiterHint : 0
; COMPUTE_PGM_RSRC2:SCRATCH_EN: 0
; COMPUTE_PGM_RSRC2:USER_SGPR: 2
; COMPUTE_PGM_RSRC2:TRAP_HANDLER: 0
; COMPUTE_PGM_RSRC2:TGID_X_EN: 1
; COMPUTE_PGM_RSRC2:TGID_Y_EN: 0
; COMPUTE_PGM_RSRC2:TGID_Z_EN: 0
; COMPUTE_PGM_RSRC2:TIDIG_COMP_CNT: 0
	.section	.text._Z19shuffle_down_kernelILj8EiEvPT0_j,"axG",@progbits,_Z19shuffle_down_kernelILj8EiEvPT0_j,comdat
	.protected	_Z19shuffle_down_kernelILj8EiEvPT0_j ; -- Begin function _Z19shuffle_down_kernelILj8EiEvPT0_j
	.globl	_Z19shuffle_down_kernelILj8EiEvPT0_j
	.p2align	8
	.type	_Z19shuffle_down_kernelILj8EiEvPT0_j,@function
_Z19shuffle_down_kernelILj8EiEvPT0_j:   ; @_Z19shuffle_down_kernelILj8EiEvPT0_j
; %bb.0:
	s_clause 0x1
	s_load_b32 s2, s[0:1], 0x1c
	s_load_b96 s[4:6], s[0:1], 0x0
	s_wait_xcnt 0x0
	s_bfe_u32 s0, ttmp6, 0x4000c
	s_and_b32 s1, ttmp6, 15
	s_add_co_i32 s0, s0, 1
	s_getreg_b32 s3, hwreg(HW_REG_IB_STS2, 6, 4)
	s_mul_i32 s0, ttmp9, s0
	v_mbcnt_lo_u32_b32 v2, -1, 0
	s_add_co_i32 s1, s1, s0
	s_delay_alu instid0(VALU_DEP_1) | instskip(SKIP_3) | instid1(VALU_DEP_1)
	v_and_b32_e32 v3, 7, v2
	s_wait_kmcnt 0x0
	s_and_b32 s2, s2, 0xffff
	s_cmp_eq_u32 s3, 0
	v_add_nc_u32_e32 v3, s6, v3
	s_cselect_b32 s0, ttmp9, s1
	s_delay_alu instid0(SALU_CYCLE_1) | instskip(NEXT) | instid1(VALU_DEP_2)
	v_mad_u32 v0, s0, s2, v0
	v_cmp_gt_i32_e32 vcc_lo, 8, v3
	v_cndmask_b32_e64 v3, 0, s6, vcc_lo
	global_load_b32 v1, v0, s[4:5] scale_offset
	v_add_lshl_u32 v2, v3, v2, 2
	s_wait_loadcnt 0x0
	ds_bpermute_b32 v1, v2, v1
	s_wait_dscnt 0x0
	global_store_b32 v0, v1, s[4:5] scale_offset
	s_endpgm
	.section	.rodata,"a",@progbits
	.p2align	6, 0x0
	.amdhsa_kernel _Z19shuffle_down_kernelILj8EiEvPT0_j
		.amdhsa_group_segment_fixed_size 0
		.amdhsa_private_segment_fixed_size 0
		.amdhsa_kernarg_size 272
		.amdhsa_user_sgpr_count 2
		.amdhsa_user_sgpr_dispatch_ptr 0
		.amdhsa_user_sgpr_queue_ptr 0
		.amdhsa_user_sgpr_kernarg_segment_ptr 1
		.amdhsa_user_sgpr_dispatch_id 0
		.amdhsa_user_sgpr_kernarg_preload_length 0
		.amdhsa_user_sgpr_kernarg_preload_offset 0
		.amdhsa_user_sgpr_private_segment_size 0
		.amdhsa_wavefront_size32 1
		.amdhsa_uses_dynamic_stack 0
		.amdhsa_enable_private_segment 0
		.amdhsa_system_sgpr_workgroup_id_x 1
		.amdhsa_system_sgpr_workgroup_id_y 0
		.amdhsa_system_sgpr_workgroup_id_z 0
		.amdhsa_system_sgpr_workgroup_info 0
		.amdhsa_system_vgpr_workitem_id 0
		.amdhsa_next_free_vgpr 4
		.amdhsa_next_free_sgpr 7
		.amdhsa_named_barrier_count 0
		.amdhsa_reserve_vcc 1
		.amdhsa_float_round_mode_32 0
		.amdhsa_float_round_mode_16_64 0
		.amdhsa_float_denorm_mode_32 3
		.amdhsa_float_denorm_mode_16_64 3
		.amdhsa_fp16_overflow 0
		.amdhsa_memory_ordered 1
		.amdhsa_forward_progress 1
		.amdhsa_inst_pref_size 2
		.amdhsa_round_robin_scheduling 0
		.amdhsa_exception_fp_ieee_invalid_op 0
		.amdhsa_exception_fp_denorm_src 0
		.amdhsa_exception_fp_ieee_div_zero 0
		.amdhsa_exception_fp_ieee_overflow 0
		.amdhsa_exception_fp_ieee_underflow 0
		.amdhsa_exception_fp_ieee_inexact 0
		.amdhsa_exception_int_div_zero 0
	.end_amdhsa_kernel
	.section	.text._Z19shuffle_down_kernelILj8EiEvPT0_j,"axG",@progbits,_Z19shuffle_down_kernelILj8EiEvPT0_j,comdat
.Lfunc_end28:
	.size	_Z19shuffle_down_kernelILj8EiEvPT0_j, .Lfunc_end28-_Z19shuffle_down_kernelILj8EiEvPT0_j
                                        ; -- End function
	.set _Z19shuffle_down_kernelILj8EiEvPT0_j.num_vgpr, 4
	.set _Z19shuffle_down_kernelILj8EiEvPT0_j.num_agpr, 0
	.set _Z19shuffle_down_kernelILj8EiEvPT0_j.numbered_sgpr, 7
	.set _Z19shuffle_down_kernelILj8EiEvPT0_j.num_named_barrier, 0
	.set _Z19shuffle_down_kernelILj8EiEvPT0_j.private_seg_size, 0
	.set _Z19shuffle_down_kernelILj8EiEvPT0_j.uses_vcc, 1
	.set _Z19shuffle_down_kernelILj8EiEvPT0_j.uses_flat_scratch, 0
	.set _Z19shuffle_down_kernelILj8EiEvPT0_j.has_dyn_sized_stack, 0
	.set _Z19shuffle_down_kernelILj8EiEvPT0_j.has_recursion, 0
	.set _Z19shuffle_down_kernelILj8EiEvPT0_j.has_indirect_call, 0
	.section	.AMDGPU.csdata,"",@progbits
; Kernel info:
; codeLenInByte = 168
; TotalNumSgprs: 9
; NumVgprs: 4
; ScratchSize: 0
; MemoryBound: 0
; FloatMode: 240
; IeeeMode: 1
; LDSByteSize: 0 bytes/workgroup (compile time only)
; SGPRBlocks: 0
; VGPRBlocks: 0
; NumSGPRsForWavesPerEU: 9
; NumVGPRsForWavesPerEU: 4
; NamedBarCnt: 0
; Occupancy: 16
; WaveLimiterHint : 0
; COMPUTE_PGM_RSRC2:SCRATCH_EN: 0
; COMPUTE_PGM_RSRC2:USER_SGPR: 2
; COMPUTE_PGM_RSRC2:TRAP_HANDLER: 0
; COMPUTE_PGM_RSRC2:TGID_X_EN: 1
; COMPUTE_PGM_RSRC2:TGID_Y_EN: 0
; COMPUTE_PGM_RSRC2:TGID_Z_EN: 0
; COMPUTE_PGM_RSRC2:TIDIG_COMP_CNT: 0
	.section	.text._Z19shuffle_down_kernelILj16EiEvPT0_j,"axG",@progbits,_Z19shuffle_down_kernelILj16EiEvPT0_j,comdat
	.protected	_Z19shuffle_down_kernelILj16EiEvPT0_j ; -- Begin function _Z19shuffle_down_kernelILj16EiEvPT0_j
	.globl	_Z19shuffle_down_kernelILj16EiEvPT0_j
	.p2align	8
	.type	_Z19shuffle_down_kernelILj16EiEvPT0_j,@function
_Z19shuffle_down_kernelILj16EiEvPT0_j:  ; @_Z19shuffle_down_kernelILj16EiEvPT0_j
; %bb.0:
	s_clause 0x1
	s_load_b32 s2, s[0:1], 0x1c
	s_load_b96 s[4:6], s[0:1], 0x0
	s_wait_xcnt 0x0
	s_bfe_u32 s0, ttmp6, 0x4000c
	s_and_b32 s1, ttmp6, 15
	s_add_co_i32 s0, s0, 1
	s_getreg_b32 s3, hwreg(HW_REG_IB_STS2, 6, 4)
	s_mul_i32 s0, ttmp9, s0
	v_mbcnt_lo_u32_b32 v2, -1, 0
	s_add_co_i32 s1, s1, s0
	s_delay_alu instid0(VALU_DEP_1) | instskip(SKIP_3) | instid1(VALU_DEP_1)
	v_and_b32_e32 v3, 15, v2
	s_wait_kmcnt 0x0
	s_and_b32 s2, s2, 0xffff
	s_cmp_eq_u32 s3, 0
	v_add_nc_u32_e32 v3, s6, v3
	s_cselect_b32 s0, ttmp9, s1
	s_delay_alu instid0(SALU_CYCLE_1) | instskip(NEXT) | instid1(VALU_DEP_2)
	v_mad_u32 v0, s0, s2, v0
	v_cmp_gt_i32_e32 vcc_lo, 16, v3
	v_cndmask_b32_e64 v3, 0, s6, vcc_lo
	global_load_b32 v1, v0, s[4:5] scale_offset
	v_add_lshl_u32 v2, v3, v2, 2
	s_wait_loadcnt 0x0
	ds_bpermute_b32 v1, v2, v1
	s_wait_dscnt 0x0
	global_store_b32 v0, v1, s[4:5] scale_offset
	s_endpgm
	.section	.rodata,"a",@progbits
	.p2align	6, 0x0
	.amdhsa_kernel _Z19shuffle_down_kernelILj16EiEvPT0_j
		.amdhsa_group_segment_fixed_size 0
		.amdhsa_private_segment_fixed_size 0
		.amdhsa_kernarg_size 272
		.amdhsa_user_sgpr_count 2
		.amdhsa_user_sgpr_dispatch_ptr 0
		.amdhsa_user_sgpr_queue_ptr 0
		.amdhsa_user_sgpr_kernarg_segment_ptr 1
		.amdhsa_user_sgpr_dispatch_id 0
		.amdhsa_user_sgpr_kernarg_preload_length 0
		.amdhsa_user_sgpr_kernarg_preload_offset 0
		.amdhsa_user_sgpr_private_segment_size 0
		.amdhsa_wavefront_size32 1
		.amdhsa_uses_dynamic_stack 0
		.amdhsa_enable_private_segment 0
		.amdhsa_system_sgpr_workgroup_id_x 1
		.amdhsa_system_sgpr_workgroup_id_y 0
		.amdhsa_system_sgpr_workgroup_id_z 0
		.amdhsa_system_sgpr_workgroup_info 0
		.amdhsa_system_vgpr_workitem_id 0
		.amdhsa_next_free_vgpr 4
		.amdhsa_next_free_sgpr 7
		.amdhsa_named_barrier_count 0
		.amdhsa_reserve_vcc 1
		.amdhsa_float_round_mode_32 0
		.amdhsa_float_round_mode_16_64 0
		.amdhsa_float_denorm_mode_32 3
		.amdhsa_float_denorm_mode_16_64 3
		.amdhsa_fp16_overflow 0
		.amdhsa_memory_ordered 1
		.amdhsa_forward_progress 1
		.amdhsa_inst_pref_size 2
		.amdhsa_round_robin_scheduling 0
		.amdhsa_exception_fp_ieee_invalid_op 0
		.amdhsa_exception_fp_denorm_src 0
		.amdhsa_exception_fp_ieee_div_zero 0
		.amdhsa_exception_fp_ieee_overflow 0
		.amdhsa_exception_fp_ieee_underflow 0
		.amdhsa_exception_fp_ieee_inexact 0
		.amdhsa_exception_int_div_zero 0
	.end_amdhsa_kernel
	.section	.text._Z19shuffle_down_kernelILj16EiEvPT0_j,"axG",@progbits,_Z19shuffle_down_kernelILj16EiEvPT0_j,comdat
.Lfunc_end29:
	.size	_Z19shuffle_down_kernelILj16EiEvPT0_j, .Lfunc_end29-_Z19shuffle_down_kernelILj16EiEvPT0_j
                                        ; -- End function
	.set _Z19shuffle_down_kernelILj16EiEvPT0_j.num_vgpr, 4
	.set _Z19shuffle_down_kernelILj16EiEvPT0_j.num_agpr, 0
	.set _Z19shuffle_down_kernelILj16EiEvPT0_j.numbered_sgpr, 7
	.set _Z19shuffle_down_kernelILj16EiEvPT0_j.num_named_barrier, 0
	.set _Z19shuffle_down_kernelILj16EiEvPT0_j.private_seg_size, 0
	.set _Z19shuffle_down_kernelILj16EiEvPT0_j.uses_vcc, 1
	.set _Z19shuffle_down_kernelILj16EiEvPT0_j.uses_flat_scratch, 0
	.set _Z19shuffle_down_kernelILj16EiEvPT0_j.has_dyn_sized_stack, 0
	.set _Z19shuffle_down_kernelILj16EiEvPT0_j.has_recursion, 0
	.set _Z19shuffle_down_kernelILj16EiEvPT0_j.has_indirect_call, 0
	.section	.AMDGPU.csdata,"",@progbits
; Kernel info:
; codeLenInByte = 168
; TotalNumSgprs: 9
; NumVgprs: 4
; ScratchSize: 0
; MemoryBound: 0
; FloatMode: 240
; IeeeMode: 1
; LDSByteSize: 0 bytes/workgroup (compile time only)
; SGPRBlocks: 0
; VGPRBlocks: 0
; NumSGPRsForWavesPerEU: 9
; NumVGPRsForWavesPerEU: 4
; NamedBarCnt: 0
; Occupancy: 16
; WaveLimiterHint : 0
; COMPUTE_PGM_RSRC2:SCRATCH_EN: 0
; COMPUTE_PGM_RSRC2:USER_SGPR: 2
; COMPUTE_PGM_RSRC2:TRAP_HANDLER: 0
; COMPUTE_PGM_RSRC2:TGID_X_EN: 1
; COMPUTE_PGM_RSRC2:TGID_Y_EN: 0
; COMPUTE_PGM_RSRC2:TGID_Z_EN: 0
; COMPUTE_PGM_RSRC2:TIDIG_COMP_CNT: 0
	.section	.text._Z19shuffle_down_kernelILj32EiEvPT0_j,"axG",@progbits,_Z19shuffle_down_kernelILj32EiEvPT0_j,comdat
	.protected	_Z19shuffle_down_kernelILj32EiEvPT0_j ; -- Begin function _Z19shuffle_down_kernelILj32EiEvPT0_j
	.globl	_Z19shuffle_down_kernelILj32EiEvPT0_j
	.p2align	8
	.type	_Z19shuffle_down_kernelILj32EiEvPT0_j,@function
_Z19shuffle_down_kernelILj32EiEvPT0_j:  ; @_Z19shuffle_down_kernelILj32EiEvPT0_j
; %bb.0:
	s_clause 0x1
	s_load_b32 s2, s[0:1], 0x1c
	s_load_b96 s[4:6], s[0:1], 0x0
	s_wait_xcnt 0x0
	s_bfe_u32 s0, ttmp6, 0x4000c
	s_and_b32 s1, ttmp6, 15
	s_add_co_i32 s0, s0, 1
	s_getreg_b32 s3, hwreg(HW_REG_IB_STS2, 6, 4)
	s_mul_i32 s0, ttmp9, s0
	v_mbcnt_lo_u32_b32 v2, -1, 0
	s_add_co_i32 s1, s1, s0
	s_wait_kmcnt 0x0
	s_and_b32 s2, s2, 0xffff
	s_cmp_eq_u32 s3, 0
	v_add_nc_u32_e32 v3, s6, v2
	s_cselect_b32 s0, ttmp9, s1
	s_delay_alu instid0(SALU_CYCLE_1) | instskip(NEXT) | instid1(VALU_DEP_2)
	v_mad_u32 v0, s0, s2, v0
	v_cmp_gt_i32_e32 vcc_lo, 32, v3
	v_cndmask_b32_e64 v3, 0, s6, vcc_lo
	global_load_b32 v1, v0, s[4:5] scale_offset
	v_add_lshl_u32 v2, v3, v2, 2
	s_wait_loadcnt 0x0
	ds_bpermute_b32 v1, v2, v1
	s_wait_dscnt 0x0
	global_store_b32 v0, v1, s[4:5] scale_offset
	s_endpgm
	.section	.rodata,"a",@progbits
	.p2align	6, 0x0
	.amdhsa_kernel _Z19shuffle_down_kernelILj32EiEvPT0_j
		.amdhsa_group_segment_fixed_size 0
		.amdhsa_private_segment_fixed_size 0
		.amdhsa_kernarg_size 272
		.amdhsa_user_sgpr_count 2
		.amdhsa_user_sgpr_dispatch_ptr 0
		.amdhsa_user_sgpr_queue_ptr 0
		.amdhsa_user_sgpr_kernarg_segment_ptr 1
		.amdhsa_user_sgpr_dispatch_id 0
		.amdhsa_user_sgpr_kernarg_preload_length 0
		.amdhsa_user_sgpr_kernarg_preload_offset 0
		.amdhsa_user_sgpr_private_segment_size 0
		.amdhsa_wavefront_size32 1
		.amdhsa_uses_dynamic_stack 0
		.amdhsa_enable_private_segment 0
		.amdhsa_system_sgpr_workgroup_id_x 1
		.amdhsa_system_sgpr_workgroup_id_y 0
		.amdhsa_system_sgpr_workgroup_id_z 0
		.amdhsa_system_sgpr_workgroup_info 0
		.amdhsa_system_vgpr_workitem_id 0
		.amdhsa_next_free_vgpr 4
		.amdhsa_next_free_sgpr 7
		.amdhsa_named_barrier_count 0
		.amdhsa_reserve_vcc 1
		.amdhsa_float_round_mode_32 0
		.amdhsa_float_round_mode_16_64 0
		.amdhsa_float_denorm_mode_32 3
		.amdhsa_float_denorm_mode_16_64 3
		.amdhsa_fp16_overflow 0
		.amdhsa_memory_ordered 1
		.amdhsa_forward_progress 1
		.amdhsa_inst_pref_size 2
		.amdhsa_round_robin_scheduling 0
		.amdhsa_exception_fp_ieee_invalid_op 0
		.amdhsa_exception_fp_denorm_src 0
		.amdhsa_exception_fp_ieee_div_zero 0
		.amdhsa_exception_fp_ieee_overflow 0
		.amdhsa_exception_fp_ieee_underflow 0
		.amdhsa_exception_fp_ieee_inexact 0
		.amdhsa_exception_int_div_zero 0
	.end_amdhsa_kernel
	.section	.text._Z19shuffle_down_kernelILj32EiEvPT0_j,"axG",@progbits,_Z19shuffle_down_kernelILj32EiEvPT0_j,comdat
.Lfunc_end30:
	.size	_Z19shuffle_down_kernelILj32EiEvPT0_j, .Lfunc_end30-_Z19shuffle_down_kernelILj32EiEvPT0_j
                                        ; -- End function
	.set _Z19shuffle_down_kernelILj32EiEvPT0_j.num_vgpr, 4
	.set _Z19shuffle_down_kernelILj32EiEvPT0_j.num_agpr, 0
	.set _Z19shuffle_down_kernelILj32EiEvPT0_j.numbered_sgpr, 7
	.set _Z19shuffle_down_kernelILj32EiEvPT0_j.num_named_barrier, 0
	.set _Z19shuffle_down_kernelILj32EiEvPT0_j.private_seg_size, 0
	.set _Z19shuffle_down_kernelILj32EiEvPT0_j.uses_vcc, 1
	.set _Z19shuffle_down_kernelILj32EiEvPT0_j.uses_flat_scratch, 0
	.set _Z19shuffle_down_kernelILj32EiEvPT0_j.has_dyn_sized_stack, 0
	.set _Z19shuffle_down_kernelILj32EiEvPT0_j.has_recursion, 0
	.set _Z19shuffle_down_kernelILj32EiEvPT0_j.has_indirect_call, 0
	.section	.AMDGPU.csdata,"",@progbits
; Kernel info:
; codeLenInByte = 160
; TotalNumSgprs: 9
; NumVgprs: 4
; ScratchSize: 0
; MemoryBound: 0
; FloatMode: 240
; IeeeMode: 1
; LDSByteSize: 0 bytes/workgroup (compile time only)
; SGPRBlocks: 0
; VGPRBlocks: 0
; NumSGPRsForWavesPerEU: 9
; NumVGPRsForWavesPerEU: 4
; NamedBarCnt: 0
; Occupancy: 16
; WaveLimiterHint : 0
; COMPUTE_PGM_RSRC2:SCRATCH_EN: 0
; COMPUTE_PGM_RSRC2:USER_SGPR: 2
; COMPUTE_PGM_RSRC2:TRAP_HANDLER: 0
; COMPUTE_PGM_RSRC2:TGID_X_EN: 1
; COMPUTE_PGM_RSRC2:TGID_Y_EN: 0
; COMPUTE_PGM_RSRC2:TGID_Z_EN: 0
; COMPUTE_PGM_RSRC2:TIDIG_COMP_CNT: 0
	.section	.text._Z20shuffle_index_kernelILj64E12hip_bfloat16EvPT0_Pi,"axG",@progbits,_Z20shuffle_index_kernelILj64E12hip_bfloat16EvPT0_Pi,comdat
	.protected	_Z20shuffle_index_kernelILj64E12hip_bfloat16EvPT0_Pi ; -- Begin function _Z20shuffle_index_kernelILj64E12hip_bfloat16EvPT0_Pi
	.globl	_Z20shuffle_index_kernelILj64E12hip_bfloat16EvPT0_Pi
	.p2align	8
	.type	_Z20shuffle_index_kernelILj64E12hip_bfloat16EvPT0_Pi,@function
_Z20shuffle_index_kernelILj64E12hip_bfloat16EvPT0_Pi: ; @_Z20shuffle_index_kernelILj64E12hip_bfloat16EvPT0_Pi
; %bb.0:
	s_clause 0x1
	s_load_b32 s2, s[0:1], 0x1c
	s_load_b128 s[4:7], s[0:1], 0x0
	s_wait_xcnt 0x0
	s_bfe_u32 s0, ttmp6, 0x4000c
	s_and_b32 s1, ttmp6, 15
	s_add_co_i32 s0, s0, 1
	s_getreg_b32 s3, hwreg(HW_REG_IB_STS2, 6, 4)
	s_mul_i32 s0, ttmp9, s0
	v_lshrrev_b32_e32 v1, 4, v0
	s_add_co_i32 s1, s1, s0
	s_delay_alu instid0(VALU_DEP_1) | instskip(SKIP_4) | instid1(SALU_CYCLE_1)
	v_and_b32_e32 v1, 60, v1
	s_wait_kmcnt 0x0
	s_and_b32 s0, s2, 0xffff
	s_cmp_eq_u32 s3, 0
	s_cselect_b32 s1, ttmp9, s1
	v_mad_u32 v0, s1, s0, v0
	global_load_b32 v2, v1, s[6:7]
	global_load_u16 v3, v0, s[4:5] scale_offset
	s_wait_loadcnt 0x1
	s_wait_xcnt 0x1
	v_and_b32_e32 v1, 63, v2
	s_delay_alu instid0(VALU_DEP_1)
	v_lshlrev_b32_e32 v1, 2, v1
	s_wait_loadcnt 0x0
	ds_bpermute_b32 v1, v1, v3
	s_wait_dscnt 0x0
	global_store_b16 v0, v1, s[4:5] scale_offset
	s_endpgm
	.section	.rodata,"a",@progbits
	.p2align	6, 0x0
	.amdhsa_kernel _Z20shuffle_index_kernelILj64E12hip_bfloat16EvPT0_Pi
		.amdhsa_group_segment_fixed_size 0
		.amdhsa_private_segment_fixed_size 0
		.amdhsa_kernarg_size 272
		.amdhsa_user_sgpr_count 2
		.amdhsa_user_sgpr_dispatch_ptr 0
		.amdhsa_user_sgpr_queue_ptr 0
		.amdhsa_user_sgpr_kernarg_segment_ptr 1
		.amdhsa_user_sgpr_dispatch_id 0
		.amdhsa_user_sgpr_kernarg_preload_length 0
		.amdhsa_user_sgpr_kernarg_preload_offset 0
		.amdhsa_user_sgpr_private_segment_size 0
		.amdhsa_wavefront_size32 1
		.amdhsa_uses_dynamic_stack 0
		.amdhsa_enable_private_segment 0
		.amdhsa_system_sgpr_workgroup_id_x 1
		.amdhsa_system_sgpr_workgroup_id_y 0
		.amdhsa_system_sgpr_workgroup_id_z 0
		.amdhsa_system_sgpr_workgroup_info 0
		.amdhsa_system_vgpr_workitem_id 0
		.amdhsa_next_free_vgpr 4
		.amdhsa_next_free_sgpr 8
		.amdhsa_named_barrier_count 0
		.amdhsa_reserve_vcc 0
		.amdhsa_float_round_mode_32 0
		.amdhsa_float_round_mode_16_64 0
		.amdhsa_float_denorm_mode_32 3
		.amdhsa_float_denorm_mode_16_64 3
		.amdhsa_fp16_overflow 0
		.amdhsa_memory_ordered 1
		.amdhsa_forward_progress 1
		.amdhsa_inst_pref_size 2
		.amdhsa_round_robin_scheduling 0
		.amdhsa_exception_fp_ieee_invalid_op 0
		.amdhsa_exception_fp_denorm_src 0
		.amdhsa_exception_fp_ieee_div_zero 0
		.amdhsa_exception_fp_ieee_overflow 0
		.amdhsa_exception_fp_ieee_underflow 0
		.amdhsa_exception_fp_ieee_inexact 0
		.amdhsa_exception_int_div_zero 0
	.end_amdhsa_kernel
	.section	.text._Z20shuffle_index_kernelILj64E12hip_bfloat16EvPT0_Pi,"axG",@progbits,_Z20shuffle_index_kernelILj64E12hip_bfloat16EvPT0_Pi,comdat
.Lfunc_end31:
	.size	_Z20shuffle_index_kernelILj64E12hip_bfloat16EvPT0_Pi, .Lfunc_end31-_Z20shuffle_index_kernelILj64E12hip_bfloat16EvPT0_Pi
                                        ; -- End function
	.set _Z20shuffle_index_kernelILj64E12hip_bfloat16EvPT0_Pi.num_vgpr, 4
	.set _Z20shuffle_index_kernelILj64E12hip_bfloat16EvPT0_Pi.num_agpr, 0
	.set _Z20shuffle_index_kernelILj64E12hip_bfloat16EvPT0_Pi.numbered_sgpr, 8
	.set _Z20shuffle_index_kernelILj64E12hip_bfloat16EvPT0_Pi.num_named_barrier, 0
	.set _Z20shuffle_index_kernelILj64E12hip_bfloat16EvPT0_Pi.private_seg_size, 0
	.set _Z20shuffle_index_kernelILj64E12hip_bfloat16EvPT0_Pi.uses_vcc, 0
	.set _Z20shuffle_index_kernelILj64E12hip_bfloat16EvPT0_Pi.uses_flat_scratch, 0
	.set _Z20shuffle_index_kernelILj64E12hip_bfloat16EvPT0_Pi.has_dyn_sized_stack, 0
	.set _Z20shuffle_index_kernelILj64E12hip_bfloat16EvPT0_Pi.has_recursion, 0
	.set _Z20shuffle_index_kernelILj64E12hip_bfloat16EvPT0_Pi.has_indirect_call, 0
	.section	.AMDGPU.csdata,"",@progbits
; Kernel info:
; codeLenInByte = 168
; TotalNumSgprs: 8
; NumVgprs: 4
; ScratchSize: 0
; MemoryBound: 0
; FloatMode: 240
; IeeeMode: 1
; LDSByteSize: 0 bytes/workgroup (compile time only)
; SGPRBlocks: 0
; VGPRBlocks: 0
; NumSGPRsForWavesPerEU: 8
; NumVGPRsForWavesPerEU: 4
; NamedBarCnt: 0
; Occupancy: 16
; WaveLimiterHint : 0
; COMPUTE_PGM_RSRC2:SCRATCH_EN: 0
; COMPUTE_PGM_RSRC2:USER_SGPR: 2
; COMPUTE_PGM_RSRC2:TRAP_HANDLER: 0
; COMPUTE_PGM_RSRC2:TGID_X_EN: 1
; COMPUTE_PGM_RSRC2:TGID_Y_EN: 0
; COMPUTE_PGM_RSRC2:TGID_Z_EN: 0
; COMPUTE_PGM_RSRC2:TIDIG_COMP_CNT: 0
	.section	.text._Z20shuffle_index_kernelILj64E6__halfEvPT0_Pi,"axG",@progbits,_Z20shuffle_index_kernelILj64E6__halfEvPT0_Pi,comdat
	.protected	_Z20shuffle_index_kernelILj64E6__halfEvPT0_Pi ; -- Begin function _Z20shuffle_index_kernelILj64E6__halfEvPT0_Pi
	.globl	_Z20shuffle_index_kernelILj64E6__halfEvPT0_Pi
	.p2align	8
	.type	_Z20shuffle_index_kernelILj64E6__halfEvPT0_Pi,@function
_Z20shuffle_index_kernelILj64E6__halfEvPT0_Pi: ; @_Z20shuffle_index_kernelILj64E6__halfEvPT0_Pi
; %bb.0:
	s_clause 0x1
	s_load_b32 s2, s[0:1], 0x1c
	s_load_b128 s[4:7], s[0:1], 0x0
	s_wait_xcnt 0x0
	s_bfe_u32 s0, ttmp6, 0x4000c
	s_and_b32 s1, ttmp6, 15
	s_add_co_i32 s0, s0, 1
	s_getreg_b32 s3, hwreg(HW_REG_IB_STS2, 6, 4)
	s_mul_i32 s0, ttmp9, s0
	v_lshrrev_b32_e32 v1, 4, v0
	s_add_co_i32 s1, s1, s0
	s_delay_alu instid0(VALU_DEP_1) | instskip(SKIP_4) | instid1(SALU_CYCLE_1)
	v_and_b32_e32 v1, 60, v1
	s_wait_kmcnt 0x0
	s_and_b32 s0, s2, 0xffff
	s_cmp_eq_u32 s3, 0
	s_cselect_b32 s1, ttmp9, s1
	v_mad_u32 v0, s1, s0, v0
	global_load_b32 v2, v1, s[6:7]
	global_load_u16 v3, v0, s[4:5] scale_offset
	s_wait_loadcnt 0x1
	s_wait_xcnt 0x1
	v_and_b32_e32 v1, 63, v2
	s_delay_alu instid0(VALU_DEP_1)
	v_lshlrev_b32_e32 v1, 2, v1
	s_wait_loadcnt 0x0
	ds_bpermute_b32 v1, v1, v3
	s_wait_dscnt 0x0
	global_store_b16 v0, v1, s[4:5] scale_offset
	s_endpgm
	.section	.rodata,"a",@progbits
	.p2align	6, 0x0
	.amdhsa_kernel _Z20shuffle_index_kernelILj64E6__halfEvPT0_Pi
		.amdhsa_group_segment_fixed_size 0
		.amdhsa_private_segment_fixed_size 0
		.amdhsa_kernarg_size 272
		.amdhsa_user_sgpr_count 2
		.amdhsa_user_sgpr_dispatch_ptr 0
		.amdhsa_user_sgpr_queue_ptr 0
		.amdhsa_user_sgpr_kernarg_segment_ptr 1
		.amdhsa_user_sgpr_dispatch_id 0
		.amdhsa_user_sgpr_kernarg_preload_length 0
		.amdhsa_user_sgpr_kernarg_preload_offset 0
		.amdhsa_user_sgpr_private_segment_size 0
		.amdhsa_wavefront_size32 1
		.amdhsa_uses_dynamic_stack 0
		.amdhsa_enable_private_segment 0
		.amdhsa_system_sgpr_workgroup_id_x 1
		.amdhsa_system_sgpr_workgroup_id_y 0
		.amdhsa_system_sgpr_workgroup_id_z 0
		.amdhsa_system_sgpr_workgroup_info 0
		.amdhsa_system_vgpr_workitem_id 0
		.amdhsa_next_free_vgpr 4
		.amdhsa_next_free_sgpr 8
		.amdhsa_named_barrier_count 0
		.amdhsa_reserve_vcc 0
		.amdhsa_float_round_mode_32 0
		.amdhsa_float_round_mode_16_64 0
		.amdhsa_float_denorm_mode_32 3
		.amdhsa_float_denorm_mode_16_64 3
		.amdhsa_fp16_overflow 0
		.amdhsa_memory_ordered 1
		.amdhsa_forward_progress 1
		.amdhsa_inst_pref_size 2
		.amdhsa_round_robin_scheduling 0
		.amdhsa_exception_fp_ieee_invalid_op 0
		.amdhsa_exception_fp_denorm_src 0
		.amdhsa_exception_fp_ieee_div_zero 0
		.amdhsa_exception_fp_ieee_overflow 0
		.amdhsa_exception_fp_ieee_underflow 0
		.amdhsa_exception_fp_ieee_inexact 0
		.amdhsa_exception_int_div_zero 0
	.end_amdhsa_kernel
	.section	.text._Z20shuffle_index_kernelILj64E6__halfEvPT0_Pi,"axG",@progbits,_Z20shuffle_index_kernelILj64E6__halfEvPT0_Pi,comdat
.Lfunc_end32:
	.size	_Z20shuffle_index_kernelILj64E6__halfEvPT0_Pi, .Lfunc_end32-_Z20shuffle_index_kernelILj64E6__halfEvPT0_Pi
                                        ; -- End function
	.set _Z20shuffle_index_kernelILj64E6__halfEvPT0_Pi.num_vgpr, 4
	.set _Z20shuffle_index_kernelILj64E6__halfEvPT0_Pi.num_agpr, 0
	.set _Z20shuffle_index_kernelILj64E6__halfEvPT0_Pi.numbered_sgpr, 8
	.set _Z20shuffle_index_kernelILj64E6__halfEvPT0_Pi.num_named_barrier, 0
	.set _Z20shuffle_index_kernelILj64E6__halfEvPT0_Pi.private_seg_size, 0
	.set _Z20shuffle_index_kernelILj64E6__halfEvPT0_Pi.uses_vcc, 0
	.set _Z20shuffle_index_kernelILj64E6__halfEvPT0_Pi.uses_flat_scratch, 0
	.set _Z20shuffle_index_kernelILj64E6__halfEvPT0_Pi.has_dyn_sized_stack, 0
	.set _Z20shuffle_index_kernelILj64E6__halfEvPT0_Pi.has_recursion, 0
	.set _Z20shuffle_index_kernelILj64E6__halfEvPT0_Pi.has_indirect_call, 0
	.section	.AMDGPU.csdata,"",@progbits
; Kernel info:
; codeLenInByte = 168
; TotalNumSgprs: 8
; NumVgprs: 4
; ScratchSize: 0
; MemoryBound: 0
; FloatMode: 240
; IeeeMode: 1
; LDSByteSize: 0 bytes/workgroup (compile time only)
; SGPRBlocks: 0
; VGPRBlocks: 0
; NumSGPRsForWavesPerEU: 8
; NumVGPRsForWavesPerEU: 4
; NamedBarCnt: 0
; Occupancy: 16
; WaveLimiterHint : 0
; COMPUTE_PGM_RSRC2:SCRATCH_EN: 0
; COMPUTE_PGM_RSRC2:USER_SGPR: 2
; COMPUTE_PGM_RSRC2:TRAP_HANDLER: 0
; COMPUTE_PGM_RSRC2:TGID_X_EN: 1
; COMPUTE_PGM_RSRC2:TGID_Y_EN: 0
; COMPUTE_PGM_RSRC2:TGID_Z_EN: 0
; COMPUTE_PGM_RSRC2:TIDIG_COMP_CNT: 0
	.section	.text._Z20shuffle_index_kernelILj64EhEvPT0_Pi,"axG",@progbits,_Z20shuffle_index_kernelILj64EhEvPT0_Pi,comdat
	.protected	_Z20shuffle_index_kernelILj64EhEvPT0_Pi ; -- Begin function _Z20shuffle_index_kernelILj64EhEvPT0_Pi
	.globl	_Z20shuffle_index_kernelILj64EhEvPT0_Pi
	.p2align	8
	.type	_Z20shuffle_index_kernelILj64EhEvPT0_Pi,@function
_Z20shuffle_index_kernelILj64EhEvPT0_Pi: ; @_Z20shuffle_index_kernelILj64EhEvPT0_Pi
; %bb.0:
	s_clause 0x1
	s_load_b32 s2, s[0:1], 0x1c
	s_load_b128 s[4:7], s[0:1], 0x0
	s_wait_xcnt 0x0
	s_bfe_u32 s0, ttmp6, 0x4000c
	s_and_b32 s1, ttmp6, 15
	s_add_co_i32 s0, s0, 1
	s_getreg_b32 s3, hwreg(HW_REG_IB_STS2, 6, 4)
	s_mul_i32 s0, ttmp9, s0
	v_lshrrev_b32_e32 v1, 4, v0
	s_add_co_i32 s1, s1, s0
	s_delay_alu instid0(VALU_DEP_1) | instskip(SKIP_4) | instid1(SALU_CYCLE_1)
	v_and_b32_e32 v1, 60, v1
	s_wait_kmcnt 0x0
	s_and_b32 s0, s2, 0xffff
	s_cmp_eq_u32 s3, 0
	s_cselect_b32 s1, ttmp9, s1
	v_mad_u32 v0, s1, s0, v0
	global_load_b32 v2, v1, s[6:7]
	global_load_u8 v3, v0, s[4:5]
	s_wait_loadcnt 0x1
	s_wait_xcnt 0x1
	v_and_b32_e32 v1, 63, v2
	s_delay_alu instid0(VALU_DEP_1)
	v_lshlrev_b32_e32 v1, 2, v1
	s_wait_loadcnt 0x0
	ds_bpermute_b32 v1, v1, v3
	s_wait_dscnt 0x0
	global_store_b8 v0, v1, s[4:5]
	s_endpgm
	.section	.rodata,"a",@progbits
	.p2align	6, 0x0
	.amdhsa_kernel _Z20shuffle_index_kernelILj64EhEvPT0_Pi
		.amdhsa_group_segment_fixed_size 0
		.amdhsa_private_segment_fixed_size 0
		.amdhsa_kernarg_size 272
		.amdhsa_user_sgpr_count 2
		.amdhsa_user_sgpr_dispatch_ptr 0
		.amdhsa_user_sgpr_queue_ptr 0
		.amdhsa_user_sgpr_kernarg_segment_ptr 1
		.amdhsa_user_sgpr_dispatch_id 0
		.amdhsa_user_sgpr_kernarg_preload_length 0
		.amdhsa_user_sgpr_kernarg_preload_offset 0
		.amdhsa_user_sgpr_private_segment_size 0
		.amdhsa_wavefront_size32 1
		.amdhsa_uses_dynamic_stack 0
		.amdhsa_enable_private_segment 0
		.amdhsa_system_sgpr_workgroup_id_x 1
		.amdhsa_system_sgpr_workgroup_id_y 0
		.amdhsa_system_sgpr_workgroup_id_z 0
		.amdhsa_system_sgpr_workgroup_info 0
		.amdhsa_system_vgpr_workitem_id 0
		.amdhsa_next_free_vgpr 4
		.amdhsa_next_free_sgpr 8
		.amdhsa_named_barrier_count 0
		.amdhsa_reserve_vcc 0
		.amdhsa_float_round_mode_32 0
		.amdhsa_float_round_mode_16_64 0
		.amdhsa_float_denorm_mode_32 3
		.amdhsa_float_denorm_mode_16_64 3
		.amdhsa_fp16_overflow 0
		.amdhsa_memory_ordered 1
		.amdhsa_forward_progress 1
		.amdhsa_inst_pref_size 2
		.amdhsa_round_robin_scheduling 0
		.amdhsa_exception_fp_ieee_invalid_op 0
		.amdhsa_exception_fp_denorm_src 0
		.amdhsa_exception_fp_ieee_div_zero 0
		.amdhsa_exception_fp_ieee_overflow 0
		.amdhsa_exception_fp_ieee_underflow 0
		.amdhsa_exception_fp_ieee_inexact 0
		.amdhsa_exception_int_div_zero 0
	.end_amdhsa_kernel
	.section	.text._Z20shuffle_index_kernelILj64EhEvPT0_Pi,"axG",@progbits,_Z20shuffle_index_kernelILj64EhEvPT0_Pi,comdat
.Lfunc_end33:
	.size	_Z20shuffle_index_kernelILj64EhEvPT0_Pi, .Lfunc_end33-_Z20shuffle_index_kernelILj64EhEvPT0_Pi
                                        ; -- End function
	.set _Z20shuffle_index_kernelILj64EhEvPT0_Pi.num_vgpr, 4
	.set _Z20shuffle_index_kernelILj64EhEvPT0_Pi.num_agpr, 0
	.set _Z20shuffle_index_kernelILj64EhEvPT0_Pi.numbered_sgpr, 8
	.set _Z20shuffle_index_kernelILj64EhEvPT0_Pi.num_named_barrier, 0
	.set _Z20shuffle_index_kernelILj64EhEvPT0_Pi.private_seg_size, 0
	.set _Z20shuffle_index_kernelILj64EhEvPT0_Pi.uses_vcc, 0
	.set _Z20shuffle_index_kernelILj64EhEvPT0_Pi.uses_flat_scratch, 0
	.set _Z20shuffle_index_kernelILj64EhEvPT0_Pi.has_dyn_sized_stack, 0
	.set _Z20shuffle_index_kernelILj64EhEvPT0_Pi.has_recursion, 0
	.set _Z20shuffle_index_kernelILj64EhEvPT0_Pi.has_indirect_call, 0
	.section	.AMDGPU.csdata,"",@progbits
; Kernel info:
; codeLenInByte = 168
; TotalNumSgprs: 8
; NumVgprs: 4
; ScratchSize: 0
; MemoryBound: 0
; FloatMode: 240
; IeeeMode: 1
; LDSByteSize: 0 bytes/workgroup (compile time only)
; SGPRBlocks: 0
; VGPRBlocks: 0
; NumSGPRsForWavesPerEU: 8
; NumVGPRsForWavesPerEU: 4
; NamedBarCnt: 0
; Occupancy: 16
; WaveLimiterHint : 0
; COMPUTE_PGM_RSRC2:SCRATCH_EN: 0
; COMPUTE_PGM_RSRC2:USER_SGPR: 2
; COMPUTE_PGM_RSRC2:TRAP_HANDLER: 0
; COMPUTE_PGM_RSRC2:TGID_X_EN: 1
; COMPUTE_PGM_RSRC2:TGID_Y_EN: 0
; COMPUTE_PGM_RSRC2:TGID_Z_EN: 0
; COMPUTE_PGM_RSRC2:TIDIG_COMP_CNT: 0
	.section	.text._Z20shuffle_index_kernelILj64EdEvPT0_Pi,"axG",@progbits,_Z20shuffle_index_kernelILj64EdEvPT0_Pi,comdat
	.protected	_Z20shuffle_index_kernelILj64EdEvPT0_Pi ; -- Begin function _Z20shuffle_index_kernelILj64EdEvPT0_Pi
	.globl	_Z20shuffle_index_kernelILj64EdEvPT0_Pi
	.p2align	8
	.type	_Z20shuffle_index_kernelILj64EdEvPT0_Pi,@function
_Z20shuffle_index_kernelILj64EdEvPT0_Pi: ; @_Z20shuffle_index_kernelILj64EdEvPT0_Pi
; %bb.0:
	s_clause 0x1
	s_load_b32 s2, s[0:1], 0x1c
	s_load_b128 s[4:7], s[0:1], 0x0
	s_wait_xcnt 0x0
	s_bfe_u32 s0, ttmp6, 0x4000c
	s_and_b32 s1, ttmp6, 15
	s_add_co_i32 s0, s0, 1
	s_getreg_b32 s3, hwreg(HW_REG_IB_STS2, 6, 4)
	s_mul_i32 s0, ttmp9, s0
	v_lshrrev_b32_e32 v1, 4, v0
	s_add_co_i32 s1, s1, s0
	s_delay_alu instid0(VALU_DEP_1) | instskip(SKIP_4) | instid1(SALU_CYCLE_1)
	v_and_b32_e32 v2, 60, v1
	s_wait_kmcnt 0x0
	s_and_b32 s0, s2, 0xffff
	s_cmp_eq_u32 s3, 0
	s_cselect_b32 s1, ttmp9, s1
	v_mad_u32 v3, s1, s0, v0
	global_load_b32 v4, v2, s[6:7]
	global_load_b64 v[0:1], v3, s[4:5] scale_offset
	s_wait_loadcnt 0x1
	s_wait_xcnt 0x1
	v_and_b32_e32 v2, 63, v4
	s_delay_alu instid0(VALU_DEP_1)
	v_lshlrev_b32_e32 v2, 2, v2
	s_wait_loadcnt 0x0
	ds_bpermute_b32 v0, v2, v0
	ds_bpermute_b32 v1, v2, v1
	s_wait_dscnt 0x0
	global_store_b64 v3, v[0:1], s[4:5] scale_offset
	s_endpgm
	.section	.rodata,"a",@progbits
	.p2align	6, 0x0
	.amdhsa_kernel _Z20shuffle_index_kernelILj64EdEvPT0_Pi
		.amdhsa_group_segment_fixed_size 0
		.amdhsa_private_segment_fixed_size 0
		.amdhsa_kernarg_size 272
		.amdhsa_user_sgpr_count 2
		.amdhsa_user_sgpr_dispatch_ptr 0
		.amdhsa_user_sgpr_queue_ptr 0
		.amdhsa_user_sgpr_kernarg_segment_ptr 1
		.amdhsa_user_sgpr_dispatch_id 0
		.amdhsa_user_sgpr_kernarg_preload_length 0
		.amdhsa_user_sgpr_kernarg_preload_offset 0
		.amdhsa_user_sgpr_private_segment_size 0
		.amdhsa_wavefront_size32 1
		.amdhsa_uses_dynamic_stack 0
		.amdhsa_enable_private_segment 0
		.amdhsa_system_sgpr_workgroup_id_x 1
		.amdhsa_system_sgpr_workgroup_id_y 0
		.amdhsa_system_sgpr_workgroup_id_z 0
		.amdhsa_system_sgpr_workgroup_info 0
		.amdhsa_system_vgpr_workitem_id 0
		.amdhsa_next_free_vgpr 5
		.amdhsa_next_free_sgpr 8
		.amdhsa_named_barrier_count 0
		.amdhsa_reserve_vcc 0
		.amdhsa_float_round_mode_32 0
		.amdhsa_float_round_mode_16_64 0
		.amdhsa_float_denorm_mode_32 3
		.amdhsa_float_denorm_mode_16_64 3
		.amdhsa_fp16_overflow 0
		.amdhsa_memory_ordered 1
		.amdhsa_forward_progress 1
		.amdhsa_inst_pref_size 2
		.amdhsa_round_robin_scheduling 0
		.amdhsa_exception_fp_ieee_invalid_op 0
		.amdhsa_exception_fp_denorm_src 0
		.amdhsa_exception_fp_ieee_div_zero 0
		.amdhsa_exception_fp_ieee_overflow 0
		.amdhsa_exception_fp_ieee_underflow 0
		.amdhsa_exception_fp_ieee_inexact 0
		.amdhsa_exception_int_div_zero 0
	.end_amdhsa_kernel
	.section	.text._Z20shuffle_index_kernelILj64EdEvPT0_Pi,"axG",@progbits,_Z20shuffle_index_kernelILj64EdEvPT0_Pi,comdat
.Lfunc_end34:
	.size	_Z20shuffle_index_kernelILj64EdEvPT0_Pi, .Lfunc_end34-_Z20shuffle_index_kernelILj64EdEvPT0_Pi
                                        ; -- End function
	.set _Z20shuffle_index_kernelILj64EdEvPT0_Pi.num_vgpr, 5
	.set _Z20shuffle_index_kernelILj64EdEvPT0_Pi.num_agpr, 0
	.set _Z20shuffle_index_kernelILj64EdEvPT0_Pi.numbered_sgpr, 8
	.set _Z20shuffle_index_kernelILj64EdEvPT0_Pi.num_named_barrier, 0
	.set _Z20shuffle_index_kernelILj64EdEvPT0_Pi.private_seg_size, 0
	.set _Z20shuffle_index_kernelILj64EdEvPT0_Pi.uses_vcc, 0
	.set _Z20shuffle_index_kernelILj64EdEvPT0_Pi.uses_flat_scratch, 0
	.set _Z20shuffle_index_kernelILj64EdEvPT0_Pi.has_dyn_sized_stack, 0
	.set _Z20shuffle_index_kernelILj64EdEvPT0_Pi.has_recursion, 0
	.set _Z20shuffle_index_kernelILj64EdEvPT0_Pi.has_indirect_call, 0
	.section	.AMDGPU.csdata,"",@progbits
; Kernel info:
; codeLenInByte = 176
; TotalNumSgprs: 8
; NumVgprs: 5
; ScratchSize: 0
; MemoryBound: 0
; FloatMode: 240
; IeeeMode: 1
; LDSByteSize: 0 bytes/workgroup (compile time only)
; SGPRBlocks: 0
; VGPRBlocks: 0
; NumSGPRsForWavesPerEU: 8
; NumVGPRsForWavesPerEU: 5
; NamedBarCnt: 0
; Occupancy: 16
; WaveLimiterHint : 0
; COMPUTE_PGM_RSRC2:SCRATCH_EN: 0
; COMPUTE_PGM_RSRC2:USER_SGPR: 2
; COMPUTE_PGM_RSRC2:TRAP_HANDLER: 0
; COMPUTE_PGM_RSRC2:TGID_X_EN: 1
; COMPUTE_PGM_RSRC2:TGID_Y_EN: 0
; COMPUTE_PGM_RSRC2:TGID_Z_EN: 0
; COMPUTE_PGM_RSRC2:TIDIG_COMP_CNT: 0
	.section	.text._Z20shuffle_index_kernelILj64EfEvPT0_Pi,"axG",@progbits,_Z20shuffle_index_kernelILj64EfEvPT0_Pi,comdat
	.protected	_Z20shuffle_index_kernelILj64EfEvPT0_Pi ; -- Begin function _Z20shuffle_index_kernelILj64EfEvPT0_Pi
	.globl	_Z20shuffle_index_kernelILj64EfEvPT0_Pi
	.p2align	8
	.type	_Z20shuffle_index_kernelILj64EfEvPT0_Pi,@function
_Z20shuffle_index_kernelILj64EfEvPT0_Pi: ; @_Z20shuffle_index_kernelILj64EfEvPT0_Pi
; %bb.0:
	s_clause 0x1
	s_load_b32 s2, s[0:1], 0x1c
	s_load_b128 s[4:7], s[0:1], 0x0
	s_wait_xcnt 0x0
	s_bfe_u32 s0, ttmp6, 0x4000c
	s_and_b32 s1, ttmp6, 15
	s_add_co_i32 s0, s0, 1
	s_getreg_b32 s3, hwreg(HW_REG_IB_STS2, 6, 4)
	s_mul_i32 s0, ttmp9, s0
	v_lshrrev_b32_e32 v1, 4, v0
	s_add_co_i32 s1, s1, s0
	s_delay_alu instid0(VALU_DEP_1) | instskip(SKIP_4) | instid1(SALU_CYCLE_1)
	v_and_b32_e32 v1, 60, v1
	s_wait_kmcnt 0x0
	s_and_b32 s0, s2, 0xffff
	s_cmp_eq_u32 s3, 0
	s_cselect_b32 s1, ttmp9, s1
	v_mad_u32 v0, s1, s0, v0
	global_load_b32 v2, v1, s[6:7]
	global_load_b32 v3, v0, s[4:5] scale_offset
	s_wait_loadcnt 0x1
	s_wait_xcnt 0x1
	v_and_b32_e32 v1, 63, v2
	s_delay_alu instid0(VALU_DEP_1)
	v_lshlrev_b32_e32 v1, 2, v1
	s_wait_loadcnt 0x0
	ds_bpermute_b32 v1, v1, v3
	s_wait_dscnt 0x0
	global_store_b32 v0, v1, s[4:5] scale_offset
	s_endpgm
	.section	.rodata,"a",@progbits
	.p2align	6, 0x0
	.amdhsa_kernel _Z20shuffle_index_kernelILj64EfEvPT0_Pi
		.amdhsa_group_segment_fixed_size 0
		.amdhsa_private_segment_fixed_size 0
		.amdhsa_kernarg_size 272
		.amdhsa_user_sgpr_count 2
		.amdhsa_user_sgpr_dispatch_ptr 0
		.amdhsa_user_sgpr_queue_ptr 0
		.amdhsa_user_sgpr_kernarg_segment_ptr 1
		.amdhsa_user_sgpr_dispatch_id 0
		.amdhsa_user_sgpr_kernarg_preload_length 0
		.amdhsa_user_sgpr_kernarg_preload_offset 0
		.amdhsa_user_sgpr_private_segment_size 0
		.amdhsa_wavefront_size32 1
		.amdhsa_uses_dynamic_stack 0
		.amdhsa_enable_private_segment 0
		.amdhsa_system_sgpr_workgroup_id_x 1
		.amdhsa_system_sgpr_workgroup_id_y 0
		.amdhsa_system_sgpr_workgroup_id_z 0
		.amdhsa_system_sgpr_workgroup_info 0
		.amdhsa_system_vgpr_workitem_id 0
		.amdhsa_next_free_vgpr 4
		.amdhsa_next_free_sgpr 8
		.amdhsa_named_barrier_count 0
		.amdhsa_reserve_vcc 0
		.amdhsa_float_round_mode_32 0
		.amdhsa_float_round_mode_16_64 0
		.amdhsa_float_denorm_mode_32 3
		.amdhsa_float_denorm_mode_16_64 3
		.amdhsa_fp16_overflow 0
		.amdhsa_memory_ordered 1
		.amdhsa_forward_progress 1
		.amdhsa_inst_pref_size 2
		.amdhsa_round_robin_scheduling 0
		.amdhsa_exception_fp_ieee_invalid_op 0
		.amdhsa_exception_fp_denorm_src 0
		.amdhsa_exception_fp_ieee_div_zero 0
		.amdhsa_exception_fp_ieee_overflow 0
		.amdhsa_exception_fp_ieee_underflow 0
		.amdhsa_exception_fp_ieee_inexact 0
		.amdhsa_exception_int_div_zero 0
	.end_amdhsa_kernel
	.section	.text._Z20shuffle_index_kernelILj64EfEvPT0_Pi,"axG",@progbits,_Z20shuffle_index_kernelILj64EfEvPT0_Pi,comdat
.Lfunc_end35:
	.size	_Z20shuffle_index_kernelILj64EfEvPT0_Pi, .Lfunc_end35-_Z20shuffle_index_kernelILj64EfEvPT0_Pi
                                        ; -- End function
	.set _Z20shuffle_index_kernelILj64EfEvPT0_Pi.num_vgpr, 4
	.set _Z20shuffle_index_kernelILj64EfEvPT0_Pi.num_agpr, 0
	.set _Z20shuffle_index_kernelILj64EfEvPT0_Pi.numbered_sgpr, 8
	.set _Z20shuffle_index_kernelILj64EfEvPT0_Pi.num_named_barrier, 0
	.set _Z20shuffle_index_kernelILj64EfEvPT0_Pi.private_seg_size, 0
	.set _Z20shuffle_index_kernelILj64EfEvPT0_Pi.uses_vcc, 0
	.set _Z20shuffle_index_kernelILj64EfEvPT0_Pi.uses_flat_scratch, 0
	.set _Z20shuffle_index_kernelILj64EfEvPT0_Pi.has_dyn_sized_stack, 0
	.set _Z20shuffle_index_kernelILj64EfEvPT0_Pi.has_recursion, 0
	.set _Z20shuffle_index_kernelILj64EfEvPT0_Pi.has_indirect_call, 0
	.section	.AMDGPU.csdata,"",@progbits
; Kernel info:
; codeLenInByte = 168
; TotalNumSgprs: 8
; NumVgprs: 4
; ScratchSize: 0
; MemoryBound: 0
; FloatMode: 240
; IeeeMode: 1
; LDSByteSize: 0 bytes/workgroup (compile time only)
; SGPRBlocks: 0
; VGPRBlocks: 0
; NumSGPRsForWavesPerEU: 8
; NumVGPRsForWavesPerEU: 4
; NamedBarCnt: 0
; Occupancy: 16
; WaveLimiterHint : 0
; COMPUTE_PGM_RSRC2:SCRATCH_EN: 0
; COMPUTE_PGM_RSRC2:USER_SGPR: 2
; COMPUTE_PGM_RSRC2:TRAP_HANDLER: 0
; COMPUTE_PGM_RSRC2:TGID_X_EN: 1
; COMPUTE_PGM_RSRC2:TGID_Y_EN: 0
; COMPUTE_PGM_RSRC2:TGID_Z_EN: 0
; COMPUTE_PGM_RSRC2:TIDIG_COMP_CNT: 0
	.section	.text._Z20shuffle_index_kernelILj32EhEvPT0_Pi,"axG",@progbits,_Z20shuffle_index_kernelILj32EhEvPT0_Pi,comdat
	.protected	_Z20shuffle_index_kernelILj32EhEvPT0_Pi ; -- Begin function _Z20shuffle_index_kernelILj32EhEvPT0_Pi
	.globl	_Z20shuffle_index_kernelILj32EhEvPT0_Pi
	.p2align	8
	.type	_Z20shuffle_index_kernelILj32EhEvPT0_Pi,@function
_Z20shuffle_index_kernelILj32EhEvPT0_Pi: ; @_Z20shuffle_index_kernelILj32EhEvPT0_Pi
; %bb.0:
	s_clause 0x1
	s_load_b32 s2, s[0:1], 0x1c
	s_load_b128 s[4:7], s[0:1], 0x0
	s_wait_xcnt 0x0
	s_bfe_u32 s0, ttmp6, 0x4000c
	s_and_b32 s1, ttmp6, 15
	s_add_co_i32 s0, s0, 1
	s_getreg_b32 s3, hwreg(HW_REG_IB_STS2, 6, 4)
	s_mul_i32 s0, ttmp9, s0
	v_lshrrev_b32_e32 v1, 3, v0
	s_add_co_i32 s1, s1, s0
	s_delay_alu instid0(VALU_DEP_1) | instskip(SKIP_4) | instid1(SALU_CYCLE_1)
	v_and_b32_e32 v1, 0x7c, v1
	s_wait_kmcnt 0x0
	s_and_b32 s0, s2, 0xffff
	s_cmp_eq_u32 s3, 0
	s_cselect_b32 s1, ttmp9, s1
	v_mad_u32 v0, s1, s0, v0
	global_load_b32 v2, v1, s[6:7]
	global_load_u8 v3, v0, s[4:5]
	s_wait_loadcnt 0x1
	s_wait_xcnt 0x1
	v_and_b32_e32 v1, 31, v2
	s_delay_alu instid0(VALU_DEP_1)
	v_lshlrev_b32_e32 v1, 2, v1
	s_wait_loadcnt 0x0
	ds_bpermute_b32 v1, v1, v3
	s_wait_dscnt 0x0
	global_store_b8 v0, v1, s[4:5]
	s_endpgm
	.section	.rodata,"a",@progbits
	.p2align	6, 0x0
	.amdhsa_kernel _Z20shuffle_index_kernelILj32EhEvPT0_Pi
		.amdhsa_group_segment_fixed_size 0
		.amdhsa_private_segment_fixed_size 0
		.amdhsa_kernarg_size 272
		.amdhsa_user_sgpr_count 2
		.amdhsa_user_sgpr_dispatch_ptr 0
		.amdhsa_user_sgpr_queue_ptr 0
		.amdhsa_user_sgpr_kernarg_segment_ptr 1
		.amdhsa_user_sgpr_dispatch_id 0
		.amdhsa_user_sgpr_kernarg_preload_length 0
		.amdhsa_user_sgpr_kernarg_preload_offset 0
		.amdhsa_user_sgpr_private_segment_size 0
		.amdhsa_wavefront_size32 1
		.amdhsa_uses_dynamic_stack 0
		.amdhsa_enable_private_segment 0
		.amdhsa_system_sgpr_workgroup_id_x 1
		.amdhsa_system_sgpr_workgroup_id_y 0
		.amdhsa_system_sgpr_workgroup_id_z 0
		.amdhsa_system_sgpr_workgroup_info 0
		.amdhsa_system_vgpr_workitem_id 0
		.amdhsa_next_free_vgpr 4
		.amdhsa_next_free_sgpr 8
		.amdhsa_named_barrier_count 0
		.amdhsa_reserve_vcc 0
		.amdhsa_float_round_mode_32 0
		.amdhsa_float_round_mode_16_64 0
		.amdhsa_float_denorm_mode_32 3
		.amdhsa_float_denorm_mode_16_64 3
		.amdhsa_fp16_overflow 0
		.amdhsa_memory_ordered 1
		.amdhsa_forward_progress 1
		.amdhsa_inst_pref_size 2
		.amdhsa_round_robin_scheduling 0
		.amdhsa_exception_fp_ieee_invalid_op 0
		.amdhsa_exception_fp_denorm_src 0
		.amdhsa_exception_fp_ieee_div_zero 0
		.amdhsa_exception_fp_ieee_overflow 0
		.amdhsa_exception_fp_ieee_underflow 0
		.amdhsa_exception_fp_ieee_inexact 0
		.amdhsa_exception_int_div_zero 0
	.end_amdhsa_kernel
	.section	.text._Z20shuffle_index_kernelILj32EhEvPT0_Pi,"axG",@progbits,_Z20shuffle_index_kernelILj32EhEvPT0_Pi,comdat
.Lfunc_end36:
	.size	_Z20shuffle_index_kernelILj32EhEvPT0_Pi, .Lfunc_end36-_Z20shuffle_index_kernelILj32EhEvPT0_Pi
                                        ; -- End function
	.set _Z20shuffle_index_kernelILj32EhEvPT0_Pi.num_vgpr, 4
	.set _Z20shuffle_index_kernelILj32EhEvPT0_Pi.num_agpr, 0
	.set _Z20shuffle_index_kernelILj32EhEvPT0_Pi.numbered_sgpr, 8
	.set _Z20shuffle_index_kernelILj32EhEvPT0_Pi.num_named_barrier, 0
	.set _Z20shuffle_index_kernelILj32EhEvPT0_Pi.private_seg_size, 0
	.set _Z20shuffle_index_kernelILj32EhEvPT0_Pi.uses_vcc, 0
	.set _Z20shuffle_index_kernelILj32EhEvPT0_Pi.uses_flat_scratch, 0
	.set _Z20shuffle_index_kernelILj32EhEvPT0_Pi.has_dyn_sized_stack, 0
	.set _Z20shuffle_index_kernelILj32EhEvPT0_Pi.has_recursion, 0
	.set _Z20shuffle_index_kernelILj32EhEvPT0_Pi.has_indirect_call, 0
	.section	.AMDGPU.csdata,"",@progbits
; Kernel info:
; codeLenInByte = 172
; TotalNumSgprs: 8
; NumVgprs: 4
; ScratchSize: 0
; MemoryBound: 0
; FloatMode: 240
; IeeeMode: 1
; LDSByteSize: 0 bytes/workgroup (compile time only)
; SGPRBlocks: 0
; VGPRBlocks: 0
; NumSGPRsForWavesPerEU: 8
; NumVGPRsForWavesPerEU: 4
; NamedBarCnt: 0
; Occupancy: 16
; WaveLimiterHint : 0
; COMPUTE_PGM_RSRC2:SCRATCH_EN: 0
; COMPUTE_PGM_RSRC2:USER_SGPR: 2
; COMPUTE_PGM_RSRC2:TRAP_HANDLER: 0
; COMPUTE_PGM_RSRC2:TGID_X_EN: 1
; COMPUTE_PGM_RSRC2:TGID_Y_EN: 0
; COMPUTE_PGM_RSRC2:TGID_Z_EN: 0
; COMPUTE_PGM_RSRC2:TIDIG_COMP_CNT: 0
	.section	.text._Z20shuffle_index_kernelILj32E12hip_bfloat16EvPT0_Pi,"axG",@progbits,_Z20shuffle_index_kernelILj32E12hip_bfloat16EvPT0_Pi,comdat
	.protected	_Z20shuffle_index_kernelILj32E12hip_bfloat16EvPT0_Pi ; -- Begin function _Z20shuffle_index_kernelILj32E12hip_bfloat16EvPT0_Pi
	.globl	_Z20shuffle_index_kernelILj32E12hip_bfloat16EvPT0_Pi
	.p2align	8
	.type	_Z20shuffle_index_kernelILj32E12hip_bfloat16EvPT0_Pi,@function
_Z20shuffle_index_kernelILj32E12hip_bfloat16EvPT0_Pi: ; @_Z20shuffle_index_kernelILj32E12hip_bfloat16EvPT0_Pi
; %bb.0:
	s_clause 0x1
	s_load_b32 s2, s[0:1], 0x1c
	s_load_b128 s[4:7], s[0:1], 0x0
	s_wait_xcnt 0x0
	s_bfe_u32 s0, ttmp6, 0x4000c
	s_and_b32 s1, ttmp6, 15
	s_add_co_i32 s0, s0, 1
	s_getreg_b32 s3, hwreg(HW_REG_IB_STS2, 6, 4)
	s_mul_i32 s0, ttmp9, s0
	v_lshrrev_b32_e32 v1, 3, v0
	s_add_co_i32 s1, s1, s0
	s_delay_alu instid0(VALU_DEP_1) | instskip(SKIP_4) | instid1(SALU_CYCLE_1)
	v_and_b32_e32 v1, 0x7c, v1
	s_wait_kmcnt 0x0
	s_and_b32 s0, s2, 0xffff
	s_cmp_eq_u32 s3, 0
	s_cselect_b32 s1, ttmp9, s1
	v_mad_u32 v0, s1, s0, v0
	global_load_b32 v2, v1, s[6:7]
	global_load_u16 v3, v0, s[4:5] scale_offset
	s_wait_loadcnt 0x1
	s_wait_xcnt 0x1
	v_and_b32_e32 v1, 31, v2
	s_delay_alu instid0(VALU_DEP_1)
	v_lshlrev_b32_e32 v1, 2, v1
	s_wait_loadcnt 0x0
	ds_bpermute_b32 v1, v1, v3
	s_wait_dscnt 0x0
	global_store_b16 v0, v1, s[4:5] scale_offset
	s_endpgm
	.section	.rodata,"a",@progbits
	.p2align	6, 0x0
	.amdhsa_kernel _Z20shuffle_index_kernelILj32E12hip_bfloat16EvPT0_Pi
		.amdhsa_group_segment_fixed_size 0
		.amdhsa_private_segment_fixed_size 0
		.amdhsa_kernarg_size 272
		.amdhsa_user_sgpr_count 2
		.amdhsa_user_sgpr_dispatch_ptr 0
		.amdhsa_user_sgpr_queue_ptr 0
		.amdhsa_user_sgpr_kernarg_segment_ptr 1
		.amdhsa_user_sgpr_dispatch_id 0
		.amdhsa_user_sgpr_kernarg_preload_length 0
		.amdhsa_user_sgpr_kernarg_preload_offset 0
		.amdhsa_user_sgpr_private_segment_size 0
		.amdhsa_wavefront_size32 1
		.amdhsa_uses_dynamic_stack 0
		.amdhsa_enable_private_segment 0
		.amdhsa_system_sgpr_workgroup_id_x 1
		.amdhsa_system_sgpr_workgroup_id_y 0
		.amdhsa_system_sgpr_workgroup_id_z 0
		.amdhsa_system_sgpr_workgroup_info 0
		.amdhsa_system_vgpr_workitem_id 0
		.amdhsa_next_free_vgpr 4
		.amdhsa_next_free_sgpr 8
		.amdhsa_named_barrier_count 0
		.amdhsa_reserve_vcc 0
		.amdhsa_float_round_mode_32 0
		.amdhsa_float_round_mode_16_64 0
		.amdhsa_float_denorm_mode_32 3
		.amdhsa_float_denorm_mode_16_64 3
		.amdhsa_fp16_overflow 0
		.amdhsa_memory_ordered 1
		.amdhsa_forward_progress 1
		.amdhsa_inst_pref_size 2
		.amdhsa_round_robin_scheduling 0
		.amdhsa_exception_fp_ieee_invalid_op 0
		.amdhsa_exception_fp_denorm_src 0
		.amdhsa_exception_fp_ieee_div_zero 0
		.amdhsa_exception_fp_ieee_overflow 0
		.amdhsa_exception_fp_ieee_underflow 0
		.amdhsa_exception_fp_ieee_inexact 0
		.amdhsa_exception_int_div_zero 0
	.end_amdhsa_kernel
	.section	.text._Z20shuffle_index_kernelILj32E12hip_bfloat16EvPT0_Pi,"axG",@progbits,_Z20shuffle_index_kernelILj32E12hip_bfloat16EvPT0_Pi,comdat
.Lfunc_end37:
	.size	_Z20shuffle_index_kernelILj32E12hip_bfloat16EvPT0_Pi, .Lfunc_end37-_Z20shuffle_index_kernelILj32E12hip_bfloat16EvPT0_Pi
                                        ; -- End function
	.set _Z20shuffle_index_kernelILj32E12hip_bfloat16EvPT0_Pi.num_vgpr, 4
	.set _Z20shuffle_index_kernelILj32E12hip_bfloat16EvPT0_Pi.num_agpr, 0
	.set _Z20shuffle_index_kernelILj32E12hip_bfloat16EvPT0_Pi.numbered_sgpr, 8
	.set _Z20shuffle_index_kernelILj32E12hip_bfloat16EvPT0_Pi.num_named_barrier, 0
	.set _Z20shuffle_index_kernelILj32E12hip_bfloat16EvPT0_Pi.private_seg_size, 0
	.set _Z20shuffle_index_kernelILj32E12hip_bfloat16EvPT0_Pi.uses_vcc, 0
	.set _Z20shuffle_index_kernelILj32E12hip_bfloat16EvPT0_Pi.uses_flat_scratch, 0
	.set _Z20shuffle_index_kernelILj32E12hip_bfloat16EvPT0_Pi.has_dyn_sized_stack, 0
	.set _Z20shuffle_index_kernelILj32E12hip_bfloat16EvPT0_Pi.has_recursion, 0
	.set _Z20shuffle_index_kernelILj32E12hip_bfloat16EvPT0_Pi.has_indirect_call, 0
	.section	.AMDGPU.csdata,"",@progbits
; Kernel info:
; codeLenInByte = 172
; TotalNumSgprs: 8
; NumVgprs: 4
; ScratchSize: 0
; MemoryBound: 0
; FloatMode: 240
; IeeeMode: 1
; LDSByteSize: 0 bytes/workgroup (compile time only)
; SGPRBlocks: 0
; VGPRBlocks: 0
; NumSGPRsForWavesPerEU: 8
; NumVGPRsForWavesPerEU: 4
; NamedBarCnt: 0
; Occupancy: 16
; WaveLimiterHint : 0
; COMPUTE_PGM_RSRC2:SCRATCH_EN: 0
; COMPUTE_PGM_RSRC2:USER_SGPR: 2
; COMPUTE_PGM_RSRC2:TRAP_HANDLER: 0
; COMPUTE_PGM_RSRC2:TGID_X_EN: 1
; COMPUTE_PGM_RSRC2:TGID_Y_EN: 0
; COMPUTE_PGM_RSRC2:TGID_Z_EN: 0
; COMPUTE_PGM_RSRC2:TIDIG_COMP_CNT: 0
	.section	.text._Z20shuffle_index_kernelILj32E6__halfEvPT0_Pi,"axG",@progbits,_Z20shuffle_index_kernelILj32E6__halfEvPT0_Pi,comdat
	.protected	_Z20shuffle_index_kernelILj32E6__halfEvPT0_Pi ; -- Begin function _Z20shuffle_index_kernelILj32E6__halfEvPT0_Pi
	.globl	_Z20shuffle_index_kernelILj32E6__halfEvPT0_Pi
	.p2align	8
	.type	_Z20shuffle_index_kernelILj32E6__halfEvPT0_Pi,@function
_Z20shuffle_index_kernelILj32E6__halfEvPT0_Pi: ; @_Z20shuffle_index_kernelILj32E6__halfEvPT0_Pi
; %bb.0:
	s_clause 0x1
	s_load_b32 s2, s[0:1], 0x1c
	s_load_b128 s[4:7], s[0:1], 0x0
	s_wait_xcnt 0x0
	s_bfe_u32 s0, ttmp6, 0x4000c
	s_and_b32 s1, ttmp6, 15
	s_add_co_i32 s0, s0, 1
	s_getreg_b32 s3, hwreg(HW_REG_IB_STS2, 6, 4)
	s_mul_i32 s0, ttmp9, s0
	v_lshrrev_b32_e32 v1, 3, v0
	s_add_co_i32 s1, s1, s0
	s_delay_alu instid0(VALU_DEP_1) | instskip(SKIP_4) | instid1(SALU_CYCLE_1)
	v_and_b32_e32 v1, 0x7c, v1
	s_wait_kmcnt 0x0
	s_and_b32 s0, s2, 0xffff
	s_cmp_eq_u32 s3, 0
	s_cselect_b32 s1, ttmp9, s1
	v_mad_u32 v0, s1, s0, v0
	global_load_b32 v2, v1, s[6:7]
	global_load_u16 v3, v0, s[4:5] scale_offset
	s_wait_loadcnt 0x1
	s_wait_xcnt 0x1
	v_and_b32_e32 v1, 31, v2
	s_delay_alu instid0(VALU_DEP_1)
	v_lshlrev_b32_e32 v1, 2, v1
	s_wait_loadcnt 0x0
	ds_bpermute_b32 v1, v1, v3
	s_wait_dscnt 0x0
	global_store_b16 v0, v1, s[4:5] scale_offset
	s_endpgm
	.section	.rodata,"a",@progbits
	.p2align	6, 0x0
	.amdhsa_kernel _Z20shuffle_index_kernelILj32E6__halfEvPT0_Pi
		.amdhsa_group_segment_fixed_size 0
		.amdhsa_private_segment_fixed_size 0
		.amdhsa_kernarg_size 272
		.amdhsa_user_sgpr_count 2
		.amdhsa_user_sgpr_dispatch_ptr 0
		.amdhsa_user_sgpr_queue_ptr 0
		.amdhsa_user_sgpr_kernarg_segment_ptr 1
		.amdhsa_user_sgpr_dispatch_id 0
		.amdhsa_user_sgpr_kernarg_preload_length 0
		.amdhsa_user_sgpr_kernarg_preload_offset 0
		.amdhsa_user_sgpr_private_segment_size 0
		.amdhsa_wavefront_size32 1
		.amdhsa_uses_dynamic_stack 0
		.amdhsa_enable_private_segment 0
		.amdhsa_system_sgpr_workgroup_id_x 1
		.amdhsa_system_sgpr_workgroup_id_y 0
		.amdhsa_system_sgpr_workgroup_id_z 0
		.amdhsa_system_sgpr_workgroup_info 0
		.amdhsa_system_vgpr_workitem_id 0
		.amdhsa_next_free_vgpr 4
		.amdhsa_next_free_sgpr 8
		.amdhsa_named_barrier_count 0
		.amdhsa_reserve_vcc 0
		.amdhsa_float_round_mode_32 0
		.amdhsa_float_round_mode_16_64 0
		.amdhsa_float_denorm_mode_32 3
		.amdhsa_float_denorm_mode_16_64 3
		.amdhsa_fp16_overflow 0
		.amdhsa_memory_ordered 1
		.amdhsa_forward_progress 1
		.amdhsa_inst_pref_size 2
		.amdhsa_round_robin_scheduling 0
		.amdhsa_exception_fp_ieee_invalid_op 0
		.amdhsa_exception_fp_denorm_src 0
		.amdhsa_exception_fp_ieee_div_zero 0
		.amdhsa_exception_fp_ieee_overflow 0
		.amdhsa_exception_fp_ieee_underflow 0
		.amdhsa_exception_fp_ieee_inexact 0
		.amdhsa_exception_int_div_zero 0
	.end_amdhsa_kernel
	.section	.text._Z20shuffle_index_kernelILj32E6__halfEvPT0_Pi,"axG",@progbits,_Z20shuffle_index_kernelILj32E6__halfEvPT0_Pi,comdat
.Lfunc_end38:
	.size	_Z20shuffle_index_kernelILj32E6__halfEvPT0_Pi, .Lfunc_end38-_Z20shuffle_index_kernelILj32E6__halfEvPT0_Pi
                                        ; -- End function
	.set _Z20shuffle_index_kernelILj32E6__halfEvPT0_Pi.num_vgpr, 4
	.set _Z20shuffle_index_kernelILj32E6__halfEvPT0_Pi.num_agpr, 0
	.set _Z20shuffle_index_kernelILj32E6__halfEvPT0_Pi.numbered_sgpr, 8
	.set _Z20shuffle_index_kernelILj32E6__halfEvPT0_Pi.num_named_barrier, 0
	.set _Z20shuffle_index_kernelILj32E6__halfEvPT0_Pi.private_seg_size, 0
	.set _Z20shuffle_index_kernelILj32E6__halfEvPT0_Pi.uses_vcc, 0
	.set _Z20shuffle_index_kernelILj32E6__halfEvPT0_Pi.uses_flat_scratch, 0
	.set _Z20shuffle_index_kernelILj32E6__halfEvPT0_Pi.has_dyn_sized_stack, 0
	.set _Z20shuffle_index_kernelILj32E6__halfEvPT0_Pi.has_recursion, 0
	.set _Z20shuffle_index_kernelILj32E6__halfEvPT0_Pi.has_indirect_call, 0
	.section	.AMDGPU.csdata,"",@progbits
; Kernel info:
; codeLenInByte = 172
; TotalNumSgprs: 8
; NumVgprs: 4
; ScratchSize: 0
; MemoryBound: 0
; FloatMode: 240
; IeeeMode: 1
; LDSByteSize: 0 bytes/workgroup (compile time only)
; SGPRBlocks: 0
; VGPRBlocks: 0
; NumSGPRsForWavesPerEU: 8
; NumVGPRsForWavesPerEU: 4
; NamedBarCnt: 0
; Occupancy: 16
; WaveLimiterHint : 0
; COMPUTE_PGM_RSRC2:SCRATCH_EN: 0
; COMPUTE_PGM_RSRC2:USER_SGPR: 2
; COMPUTE_PGM_RSRC2:TRAP_HANDLER: 0
; COMPUTE_PGM_RSRC2:TGID_X_EN: 1
; COMPUTE_PGM_RSRC2:TGID_Y_EN: 0
; COMPUTE_PGM_RSRC2:TGID_Z_EN: 0
; COMPUTE_PGM_RSRC2:TIDIG_COMP_CNT: 0
	.section	.text._Z20shuffle_index_kernelILj32EdEvPT0_Pi,"axG",@progbits,_Z20shuffle_index_kernelILj32EdEvPT0_Pi,comdat
	.protected	_Z20shuffle_index_kernelILj32EdEvPT0_Pi ; -- Begin function _Z20shuffle_index_kernelILj32EdEvPT0_Pi
	.globl	_Z20shuffle_index_kernelILj32EdEvPT0_Pi
	.p2align	8
	.type	_Z20shuffle_index_kernelILj32EdEvPT0_Pi,@function
_Z20shuffle_index_kernelILj32EdEvPT0_Pi: ; @_Z20shuffle_index_kernelILj32EdEvPT0_Pi
; %bb.0:
	s_clause 0x1
	s_load_b32 s2, s[0:1], 0x1c
	s_load_b128 s[4:7], s[0:1], 0x0
	s_wait_xcnt 0x0
	s_bfe_u32 s0, ttmp6, 0x4000c
	s_and_b32 s1, ttmp6, 15
	s_add_co_i32 s0, s0, 1
	s_getreg_b32 s3, hwreg(HW_REG_IB_STS2, 6, 4)
	s_mul_i32 s0, ttmp9, s0
	v_lshrrev_b32_e32 v1, 3, v0
	s_add_co_i32 s1, s1, s0
	s_delay_alu instid0(VALU_DEP_1) | instskip(SKIP_4) | instid1(SALU_CYCLE_1)
	v_and_b32_e32 v2, 0x7c, v1
	s_wait_kmcnt 0x0
	s_and_b32 s0, s2, 0xffff
	s_cmp_eq_u32 s3, 0
	s_cselect_b32 s1, ttmp9, s1
	v_mad_u32 v3, s1, s0, v0
	global_load_b32 v4, v2, s[6:7]
	global_load_b64 v[0:1], v3, s[4:5] scale_offset
	s_wait_loadcnt 0x1
	s_wait_xcnt 0x1
	v_and_b32_e32 v2, 31, v4
	s_delay_alu instid0(VALU_DEP_1)
	v_lshlrev_b32_e32 v2, 2, v2
	s_wait_loadcnt 0x0
	ds_bpermute_b32 v0, v2, v0
	ds_bpermute_b32 v1, v2, v1
	s_wait_dscnt 0x0
	global_store_b64 v3, v[0:1], s[4:5] scale_offset
	s_endpgm
	.section	.rodata,"a",@progbits
	.p2align	6, 0x0
	.amdhsa_kernel _Z20shuffle_index_kernelILj32EdEvPT0_Pi
		.amdhsa_group_segment_fixed_size 0
		.amdhsa_private_segment_fixed_size 0
		.amdhsa_kernarg_size 272
		.amdhsa_user_sgpr_count 2
		.amdhsa_user_sgpr_dispatch_ptr 0
		.amdhsa_user_sgpr_queue_ptr 0
		.amdhsa_user_sgpr_kernarg_segment_ptr 1
		.amdhsa_user_sgpr_dispatch_id 0
		.amdhsa_user_sgpr_kernarg_preload_length 0
		.amdhsa_user_sgpr_kernarg_preload_offset 0
		.amdhsa_user_sgpr_private_segment_size 0
		.amdhsa_wavefront_size32 1
		.amdhsa_uses_dynamic_stack 0
		.amdhsa_enable_private_segment 0
		.amdhsa_system_sgpr_workgroup_id_x 1
		.amdhsa_system_sgpr_workgroup_id_y 0
		.amdhsa_system_sgpr_workgroup_id_z 0
		.amdhsa_system_sgpr_workgroup_info 0
		.amdhsa_system_vgpr_workitem_id 0
		.amdhsa_next_free_vgpr 5
		.amdhsa_next_free_sgpr 8
		.amdhsa_named_barrier_count 0
		.amdhsa_reserve_vcc 0
		.amdhsa_float_round_mode_32 0
		.amdhsa_float_round_mode_16_64 0
		.amdhsa_float_denorm_mode_32 3
		.amdhsa_float_denorm_mode_16_64 3
		.amdhsa_fp16_overflow 0
		.amdhsa_memory_ordered 1
		.amdhsa_forward_progress 1
		.amdhsa_inst_pref_size 2
		.amdhsa_round_robin_scheduling 0
		.amdhsa_exception_fp_ieee_invalid_op 0
		.amdhsa_exception_fp_denorm_src 0
		.amdhsa_exception_fp_ieee_div_zero 0
		.amdhsa_exception_fp_ieee_overflow 0
		.amdhsa_exception_fp_ieee_underflow 0
		.amdhsa_exception_fp_ieee_inexact 0
		.amdhsa_exception_int_div_zero 0
	.end_amdhsa_kernel
	.section	.text._Z20shuffle_index_kernelILj32EdEvPT0_Pi,"axG",@progbits,_Z20shuffle_index_kernelILj32EdEvPT0_Pi,comdat
.Lfunc_end39:
	.size	_Z20shuffle_index_kernelILj32EdEvPT0_Pi, .Lfunc_end39-_Z20shuffle_index_kernelILj32EdEvPT0_Pi
                                        ; -- End function
	.set _Z20shuffle_index_kernelILj32EdEvPT0_Pi.num_vgpr, 5
	.set _Z20shuffle_index_kernelILj32EdEvPT0_Pi.num_agpr, 0
	.set _Z20shuffle_index_kernelILj32EdEvPT0_Pi.numbered_sgpr, 8
	.set _Z20shuffle_index_kernelILj32EdEvPT0_Pi.num_named_barrier, 0
	.set _Z20shuffle_index_kernelILj32EdEvPT0_Pi.private_seg_size, 0
	.set _Z20shuffle_index_kernelILj32EdEvPT0_Pi.uses_vcc, 0
	.set _Z20shuffle_index_kernelILj32EdEvPT0_Pi.uses_flat_scratch, 0
	.set _Z20shuffle_index_kernelILj32EdEvPT0_Pi.has_dyn_sized_stack, 0
	.set _Z20shuffle_index_kernelILj32EdEvPT0_Pi.has_recursion, 0
	.set _Z20shuffle_index_kernelILj32EdEvPT0_Pi.has_indirect_call, 0
	.section	.AMDGPU.csdata,"",@progbits
; Kernel info:
; codeLenInByte = 180
; TotalNumSgprs: 8
; NumVgprs: 5
; ScratchSize: 0
; MemoryBound: 0
; FloatMode: 240
; IeeeMode: 1
; LDSByteSize: 0 bytes/workgroup (compile time only)
; SGPRBlocks: 0
; VGPRBlocks: 0
; NumSGPRsForWavesPerEU: 8
; NumVGPRsForWavesPerEU: 5
; NamedBarCnt: 0
; Occupancy: 16
; WaveLimiterHint : 0
; COMPUTE_PGM_RSRC2:SCRATCH_EN: 0
; COMPUTE_PGM_RSRC2:USER_SGPR: 2
; COMPUTE_PGM_RSRC2:TRAP_HANDLER: 0
; COMPUTE_PGM_RSRC2:TGID_X_EN: 1
; COMPUTE_PGM_RSRC2:TGID_Y_EN: 0
; COMPUTE_PGM_RSRC2:TGID_Z_EN: 0
; COMPUTE_PGM_RSRC2:TIDIG_COMP_CNT: 0
	.section	.text._Z20shuffle_index_kernelILj32EfEvPT0_Pi,"axG",@progbits,_Z20shuffle_index_kernelILj32EfEvPT0_Pi,comdat
	.protected	_Z20shuffle_index_kernelILj32EfEvPT0_Pi ; -- Begin function _Z20shuffle_index_kernelILj32EfEvPT0_Pi
	.globl	_Z20shuffle_index_kernelILj32EfEvPT0_Pi
	.p2align	8
	.type	_Z20shuffle_index_kernelILj32EfEvPT0_Pi,@function
_Z20shuffle_index_kernelILj32EfEvPT0_Pi: ; @_Z20shuffle_index_kernelILj32EfEvPT0_Pi
; %bb.0:
	s_clause 0x1
	s_load_b32 s2, s[0:1], 0x1c
	s_load_b128 s[4:7], s[0:1], 0x0
	s_wait_xcnt 0x0
	s_bfe_u32 s0, ttmp6, 0x4000c
	s_and_b32 s1, ttmp6, 15
	s_add_co_i32 s0, s0, 1
	s_getreg_b32 s3, hwreg(HW_REG_IB_STS2, 6, 4)
	s_mul_i32 s0, ttmp9, s0
	v_lshrrev_b32_e32 v1, 3, v0
	s_add_co_i32 s1, s1, s0
	s_delay_alu instid0(VALU_DEP_1) | instskip(SKIP_4) | instid1(SALU_CYCLE_1)
	v_and_b32_e32 v1, 0x7c, v1
	s_wait_kmcnt 0x0
	s_and_b32 s0, s2, 0xffff
	s_cmp_eq_u32 s3, 0
	s_cselect_b32 s1, ttmp9, s1
	v_mad_u32 v0, s1, s0, v0
	global_load_b32 v2, v1, s[6:7]
	global_load_b32 v3, v0, s[4:5] scale_offset
	s_wait_loadcnt 0x1
	s_wait_xcnt 0x1
	v_and_b32_e32 v1, 31, v2
	s_delay_alu instid0(VALU_DEP_1)
	v_lshlrev_b32_e32 v1, 2, v1
	s_wait_loadcnt 0x0
	ds_bpermute_b32 v1, v1, v3
	s_wait_dscnt 0x0
	global_store_b32 v0, v1, s[4:5] scale_offset
	s_endpgm
	.section	.rodata,"a",@progbits
	.p2align	6, 0x0
	.amdhsa_kernel _Z20shuffle_index_kernelILj32EfEvPT0_Pi
		.amdhsa_group_segment_fixed_size 0
		.amdhsa_private_segment_fixed_size 0
		.amdhsa_kernarg_size 272
		.amdhsa_user_sgpr_count 2
		.amdhsa_user_sgpr_dispatch_ptr 0
		.amdhsa_user_sgpr_queue_ptr 0
		.amdhsa_user_sgpr_kernarg_segment_ptr 1
		.amdhsa_user_sgpr_dispatch_id 0
		.amdhsa_user_sgpr_kernarg_preload_length 0
		.amdhsa_user_sgpr_kernarg_preload_offset 0
		.amdhsa_user_sgpr_private_segment_size 0
		.amdhsa_wavefront_size32 1
		.amdhsa_uses_dynamic_stack 0
		.amdhsa_enable_private_segment 0
		.amdhsa_system_sgpr_workgroup_id_x 1
		.amdhsa_system_sgpr_workgroup_id_y 0
		.amdhsa_system_sgpr_workgroup_id_z 0
		.amdhsa_system_sgpr_workgroup_info 0
		.amdhsa_system_vgpr_workitem_id 0
		.amdhsa_next_free_vgpr 4
		.amdhsa_next_free_sgpr 8
		.amdhsa_named_barrier_count 0
		.amdhsa_reserve_vcc 0
		.amdhsa_float_round_mode_32 0
		.amdhsa_float_round_mode_16_64 0
		.amdhsa_float_denorm_mode_32 3
		.amdhsa_float_denorm_mode_16_64 3
		.amdhsa_fp16_overflow 0
		.amdhsa_memory_ordered 1
		.amdhsa_forward_progress 1
		.amdhsa_inst_pref_size 2
		.amdhsa_round_robin_scheduling 0
		.amdhsa_exception_fp_ieee_invalid_op 0
		.amdhsa_exception_fp_denorm_src 0
		.amdhsa_exception_fp_ieee_div_zero 0
		.amdhsa_exception_fp_ieee_overflow 0
		.amdhsa_exception_fp_ieee_underflow 0
		.amdhsa_exception_fp_ieee_inexact 0
		.amdhsa_exception_int_div_zero 0
	.end_amdhsa_kernel
	.section	.text._Z20shuffle_index_kernelILj32EfEvPT0_Pi,"axG",@progbits,_Z20shuffle_index_kernelILj32EfEvPT0_Pi,comdat
.Lfunc_end40:
	.size	_Z20shuffle_index_kernelILj32EfEvPT0_Pi, .Lfunc_end40-_Z20shuffle_index_kernelILj32EfEvPT0_Pi
                                        ; -- End function
	.set _Z20shuffle_index_kernelILj32EfEvPT0_Pi.num_vgpr, 4
	.set _Z20shuffle_index_kernelILj32EfEvPT0_Pi.num_agpr, 0
	.set _Z20shuffle_index_kernelILj32EfEvPT0_Pi.numbered_sgpr, 8
	.set _Z20shuffle_index_kernelILj32EfEvPT0_Pi.num_named_barrier, 0
	.set _Z20shuffle_index_kernelILj32EfEvPT0_Pi.private_seg_size, 0
	.set _Z20shuffle_index_kernelILj32EfEvPT0_Pi.uses_vcc, 0
	.set _Z20shuffle_index_kernelILj32EfEvPT0_Pi.uses_flat_scratch, 0
	.set _Z20shuffle_index_kernelILj32EfEvPT0_Pi.has_dyn_sized_stack, 0
	.set _Z20shuffle_index_kernelILj32EfEvPT0_Pi.has_recursion, 0
	.set _Z20shuffle_index_kernelILj32EfEvPT0_Pi.has_indirect_call, 0
	.section	.AMDGPU.csdata,"",@progbits
; Kernel info:
; codeLenInByte = 172
; TotalNumSgprs: 8
; NumVgprs: 4
; ScratchSize: 0
; MemoryBound: 0
; FloatMode: 240
; IeeeMode: 1
; LDSByteSize: 0 bytes/workgroup (compile time only)
; SGPRBlocks: 0
; VGPRBlocks: 0
; NumSGPRsForWavesPerEU: 8
; NumVGPRsForWavesPerEU: 4
; NamedBarCnt: 0
; Occupancy: 16
; WaveLimiterHint : 0
; COMPUTE_PGM_RSRC2:SCRATCH_EN: 0
; COMPUTE_PGM_RSRC2:USER_SGPR: 2
; COMPUTE_PGM_RSRC2:TRAP_HANDLER: 0
; COMPUTE_PGM_RSRC2:TGID_X_EN: 1
; COMPUTE_PGM_RSRC2:TGID_Y_EN: 0
; COMPUTE_PGM_RSRC2:TGID_Z_EN: 0
; COMPUTE_PGM_RSRC2:TIDIG_COMP_CNT: 0
	.section	.text._Z20shuffle_index_kernelILj2EiEvPT0_Pi,"axG",@progbits,_Z20shuffle_index_kernelILj2EiEvPT0_Pi,comdat
	.protected	_Z20shuffle_index_kernelILj2EiEvPT0_Pi ; -- Begin function _Z20shuffle_index_kernelILj2EiEvPT0_Pi
	.globl	_Z20shuffle_index_kernelILj2EiEvPT0_Pi
	.p2align	8
	.type	_Z20shuffle_index_kernelILj2EiEvPT0_Pi,@function
_Z20shuffle_index_kernelILj2EiEvPT0_Pi: ; @_Z20shuffle_index_kernelILj2EiEvPT0_Pi
; %bb.0:
	s_clause 0x1
	s_load_b32 s2, s[0:1], 0x1c
	s_load_b128 s[4:7], s[0:1], 0x0
	v_lshlrev_b32_e32 v1, 1, v0
	s_wait_xcnt 0x0
	s_bfe_u32 s0, ttmp6, 0x4000c
	s_and_b32 s1, ttmp6, 15
	s_add_co_i32 s0, s0, 1
	s_getreg_b32 s3, hwreg(HW_REG_IB_STS2, 6, 4)
	v_and_b32_e32 v1, 0x7fc, v1
	s_mul_i32 s0, ttmp9, s0
	v_mbcnt_lo_u32_b32 v3, -1, 0
	s_add_co_i32 s1, s1, s0
	s_wait_kmcnt 0x0
	s_and_b32 s0, s2, 0xffff
	s_cmp_eq_u32 s3, 0
	global_load_b32 v1, v1, s[6:7]
	s_cselect_b32 s1, ttmp9, s1
	s_delay_alu instid0(SALU_CYCLE_1) | instskip(SKIP_4) | instid1(VALU_DEP_1)
	v_mad_u32 v0, s1, s0, v0
	global_load_b32 v2, v0, s[4:5] scale_offset
	s_wait_loadcnt 0x1
	s_wait_xcnt 0x1
	v_and_b32_e32 v1, 1, v1
	v_and_or_b32 v1, v3, 30, v1
	s_delay_alu instid0(VALU_DEP_1)
	v_lshlrev_b32_e32 v1, 2, v1
	s_wait_loadcnt 0x0
	ds_bpermute_b32 v1, v1, v2
	s_wait_dscnt 0x0
	global_store_b32 v0, v1, s[4:5] scale_offset
	s_endpgm
	.section	.rodata,"a",@progbits
	.p2align	6, 0x0
	.amdhsa_kernel _Z20shuffle_index_kernelILj2EiEvPT0_Pi
		.amdhsa_group_segment_fixed_size 0
		.amdhsa_private_segment_fixed_size 0
		.amdhsa_kernarg_size 272
		.amdhsa_user_sgpr_count 2
		.amdhsa_user_sgpr_dispatch_ptr 0
		.amdhsa_user_sgpr_queue_ptr 0
		.amdhsa_user_sgpr_kernarg_segment_ptr 1
		.amdhsa_user_sgpr_dispatch_id 0
		.amdhsa_user_sgpr_kernarg_preload_length 0
		.amdhsa_user_sgpr_kernarg_preload_offset 0
		.amdhsa_user_sgpr_private_segment_size 0
		.amdhsa_wavefront_size32 1
		.amdhsa_uses_dynamic_stack 0
		.amdhsa_enable_private_segment 0
		.amdhsa_system_sgpr_workgroup_id_x 1
		.amdhsa_system_sgpr_workgroup_id_y 0
		.amdhsa_system_sgpr_workgroup_id_z 0
		.amdhsa_system_sgpr_workgroup_info 0
		.amdhsa_system_vgpr_workitem_id 0
		.amdhsa_next_free_vgpr 4
		.amdhsa_next_free_sgpr 8
		.amdhsa_named_barrier_count 0
		.amdhsa_reserve_vcc 0
		.amdhsa_float_round_mode_32 0
		.amdhsa_float_round_mode_16_64 0
		.amdhsa_float_denorm_mode_32 3
		.amdhsa_float_denorm_mode_16_64 3
		.amdhsa_fp16_overflow 0
		.amdhsa_memory_ordered 1
		.amdhsa_forward_progress 1
		.amdhsa_inst_pref_size 2
		.amdhsa_round_robin_scheduling 0
		.amdhsa_exception_fp_ieee_invalid_op 0
		.amdhsa_exception_fp_denorm_src 0
		.amdhsa_exception_fp_ieee_div_zero 0
		.amdhsa_exception_fp_ieee_overflow 0
		.amdhsa_exception_fp_ieee_underflow 0
		.amdhsa_exception_fp_ieee_inexact 0
		.amdhsa_exception_int_div_zero 0
	.end_amdhsa_kernel
	.section	.text._Z20shuffle_index_kernelILj2EiEvPT0_Pi,"axG",@progbits,_Z20shuffle_index_kernelILj2EiEvPT0_Pi,comdat
.Lfunc_end41:
	.size	_Z20shuffle_index_kernelILj2EiEvPT0_Pi, .Lfunc_end41-_Z20shuffle_index_kernelILj2EiEvPT0_Pi
                                        ; -- End function
	.set _Z20shuffle_index_kernelILj2EiEvPT0_Pi.num_vgpr, 4
	.set _Z20shuffle_index_kernelILj2EiEvPT0_Pi.num_agpr, 0
	.set _Z20shuffle_index_kernelILj2EiEvPT0_Pi.numbered_sgpr, 8
	.set _Z20shuffle_index_kernelILj2EiEvPT0_Pi.num_named_barrier, 0
	.set _Z20shuffle_index_kernelILj2EiEvPT0_Pi.private_seg_size, 0
	.set _Z20shuffle_index_kernelILj2EiEvPT0_Pi.uses_vcc, 0
	.set _Z20shuffle_index_kernelILj2EiEvPT0_Pi.uses_flat_scratch, 0
	.set _Z20shuffle_index_kernelILj2EiEvPT0_Pi.has_dyn_sized_stack, 0
	.set _Z20shuffle_index_kernelILj2EiEvPT0_Pi.has_recursion, 0
	.set _Z20shuffle_index_kernelILj2EiEvPT0_Pi.has_indirect_call, 0
	.section	.AMDGPU.csdata,"",@progbits
; Kernel info:
; codeLenInByte = 188
; TotalNumSgprs: 8
; NumVgprs: 4
; ScratchSize: 0
; MemoryBound: 0
; FloatMode: 240
; IeeeMode: 1
; LDSByteSize: 0 bytes/workgroup (compile time only)
; SGPRBlocks: 0
; VGPRBlocks: 0
; NumSGPRsForWavesPerEU: 8
; NumVGPRsForWavesPerEU: 4
; NamedBarCnt: 0
; Occupancy: 16
; WaveLimiterHint : 0
; COMPUTE_PGM_RSRC2:SCRATCH_EN: 0
; COMPUTE_PGM_RSRC2:USER_SGPR: 2
; COMPUTE_PGM_RSRC2:TRAP_HANDLER: 0
; COMPUTE_PGM_RSRC2:TGID_X_EN: 1
; COMPUTE_PGM_RSRC2:TGID_Y_EN: 0
; COMPUTE_PGM_RSRC2:TGID_Z_EN: 0
; COMPUTE_PGM_RSRC2:TIDIG_COMP_CNT: 0
	.section	.text._Z20shuffle_index_kernelILj4EiEvPT0_Pi,"axG",@progbits,_Z20shuffle_index_kernelILj4EiEvPT0_Pi,comdat
	.protected	_Z20shuffle_index_kernelILj4EiEvPT0_Pi ; -- Begin function _Z20shuffle_index_kernelILj4EiEvPT0_Pi
	.globl	_Z20shuffle_index_kernelILj4EiEvPT0_Pi
	.p2align	8
	.type	_Z20shuffle_index_kernelILj4EiEvPT0_Pi,@function
_Z20shuffle_index_kernelILj4EiEvPT0_Pi: ; @_Z20shuffle_index_kernelILj4EiEvPT0_Pi
; %bb.0:
	s_clause 0x1
	s_load_b32 s2, s[0:1], 0x1c
	s_load_b128 s[4:7], s[0:1], 0x0
	s_wait_xcnt 0x0
	s_bfe_u32 s0, ttmp6, 0x4000c
	v_and_b32_e32 v1, 0x3fc, v0
	s_add_co_i32 s0, s0, 1
	s_and_b32 s1, ttmp6, 15
	s_mul_i32 s0, ttmp9, s0
	s_getreg_b32 s3, hwreg(HW_REG_IB_STS2, 6, 4)
	s_add_co_i32 s1, s1, s0
	v_mbcnt_lo_u32_b32 v3, -1, 0
	s_wait_kmcnt 0x0
	s_and_b32 s0, s2, 0xffff
	s_cmp_eq_u32 s3, 0
	global_load_b32 v1, v1, s[6:7]
	s_cselect_b32 s1, ttmp9, s1
	s_delay_alu instid0(SALU_CYCLE_1) | instskip(SKIP_4) | instid1(VALU_DEP_1)
	v_mad_u32 v0, s1, s0, v0
	global_load_b32 v2, v0, s[4:5] scale_offset
	s_wait_loadcnt 0x1
	s_wait_xcnt 0x1
	v_and_b32_e32 v1, 3, v1
	v_and_or_b32 v1, v3, 28, v1
	s_delay_alu instid0(VALU_DEP_1)
	v_lshlrev_b32_e32 v1, 2, v1
	s_wait_loadcnt 0x0
	ds_bpermute_b32 v1, v1, v2
	s_wait_dscnt 0x0
	global_store_b32 v0, v1, s[4:5] scale_offset
	s_endpgm
	.section	.rodata,"a",@progbits
	.p2align	6, 0x0
	.amdhsa_kernel _Z20shuffle_index_kernelILj4EiEvPT0_Pi
		.amdhsa_group_segment_fixed_size 0
		.amdhsa_private_segment_fixed_size 0
		.amdhsa_kernarg_size 272
		.amdhsa_user_sgpr_count 2
		.amdhsa_user_sgpr_dispatch_ptr 0
		.amdhsa_user_sgpr_queue_ptr 0
		.amdhsa_user_sgpr_kernarg_segment_ptr 1
		.amdhsa_user_sgpr_dispatch_id 0
		.amdhsa_user_sgpr_kernarg_preload_length 0
		.amdhsa_user_sgpr_kernarg_preload_offset 0
		.amdhsa_user_sgpr_private_segment_size 0
		.amdhsa_wavefront_size32 1
		.amdhsa_uses_dynamic_stack 0
		.amdhsa_enable_private_segment 0
		.amdhsa_system_sgpr_workgroup_id_x 1
		.amdhsa_system_sgpr_workgroup_id_y 0
		.amdhsa_system_sgpr_workgroup_id_z 0
		.amdhsa_system_sgpr_workgroup_info 0
		.amdhsa_system_vgpr_workitem_id 0
		.amdhsa_next_free_vgpr 4
		.amdhsa_next_free_sgpr 8
		.amdhsa_named_barrier_count 0
		.amdhsa_reserve_vcc 0
		.amdhsa_float_round_mode_32 0
		.amdhsa_float_round_mode_16_64 0
		.amdhsa_float_denorm_mode_32 3
		.amdhsa_float_denorm_mode_16_64 3
		.amdhsa_fp16_overflow 0
		.amdhsa_memory_ordered 1
		.amdhsa_forward_progress 1
		.amdhsa_inst_pref_size 2
		.amdhsa_round_robin_scheduling 0
		.amdhsa_exception_fp_ieee_invalid_op 0
		.amdhsa_exception_fp_denorm_src 0
		.amdhsa_exception_fp_ieee_div_zero 0
		.amdhsa_exception_fp_ieee_overflow 0
		.amdhsa_exception_fp_ieee_underflow 0
		.amdhsa_exception_fp_ieee_inexact 0
		.amdhsa_exception_int_div_zero 0
	.end_amdhsa_kernel
	.section	.text._Z20shuffle_index_kernelILj4EiEvPT0_Pi,"axG",@progbits,_Z20shuffle_index_kernelILj4EiEvPT0_Pi,comdat
.Lfunc_end42:
	.size	_Z20shuffle_index_kernelILj4EiEvPT0_Pi, .Lfunc_end42-_Z20shuffle_index_kernelILj4EiEvPT0_Pi
                                        ; -- End function
	.set _Z20shuffle_index_kernelILj4EiEvPT0_Pi.num_vgpr, 4
	.set _Z20shuffle_index_kernelILj4EiEvPT0_Pi.num_agpr, 0
	.set _Z20shuffle_index_kernelILj4EiEvPT0_Pi.numbered_sgpr, 8
	.set _Z20shuffle_index_kernelILj4EiEvPT0_Pi.num_named_barrier, 0
	.set _Z20shuffle_index_kernelILj4EiEvPT0_Pi.private_seg_size, 0
	.set _Z20shuffle_index_kernelILj4EiEvPT0_Pi.uses_vcc, 0
	.set _Z20shuffle_index_kernelILj4EiEvPT0_Pi.uses_flat_scratch, 0
	.set _Z20shuffle_index_kernelILj4EiEvPT0_Pi.has_dyn_sized_stack, 0
	.set _Z20shuffle_index_kernelILj4EiEvPT0_Pi.has_recursion, 0
	.set _Z20shuffle_index_kernelILj4EiEvPT0_Pi.has_indirect_call, 0
	.section	.AMDGPU.csdata,"",@progbits
; Kernel info:
; codeLenInByte = 184
; TotalNumSgprs: 8
; NumVgprs: 4
; ScratchSize: 0
; MemoryBound: 0
; FloatMode: 240
; IeeeMode: 1
; LDSByteSize: 0 bytes/workgroup (compile time only)
; SGPRBlocks: 0
; VGPRBlocks: 0
; NumSGPRsForWavesPerEU: 8
; NumVGPRsForWavesPerEU: 4
; NamedBarCnt: 0
; Occupancy: 16
; WaveLimiterHint : 0
; COMPUTE_PGM_RSRC2:SCRATCH_EN: 0
; COMPUTE_PGM_RSRC2:USER_SGPR: 2
; COMPUTE_PGM_RSRC2:TRAP_HANDLER: 0
; COMPUTE_PGM_RSRC2:TGID_X_EN: 1
; COMPUTE_PGM_RSRC2:TGID_Y_EN: 0
; COMPUTE_PGM_RSRC2:TGID_Z_EN: 0
; COMPUTE_PGM_RSRC2:TIDIG_COMP_CNT: 0
	.section	.text._Z20shuffle_index_kernelILj8EiEvPT0_Pi,"axG",@progbits,_Z20shuffle_index_kernelILj8EiEvPT0_Pi,comdat
	.protected	_Z20shuffle_index_kernelILj8EiEvPT0_Pi ; -- Begin function _Z20shuffle_index_kernelILj8EiEvPT0_Pi
	.globl	_Z20shuffle_index_kernelILj8EiEvPT0_Pi
	.p2align	8
	.type	_Z20shuffle_index_kernelILj8EiEvPT0_Pi,@function
_Z20shuffle_index_kernelILj8EiEvPT0_Pi: ; @_Z20shuffle_index_kernelILj8EiEvPT0_Pi
; %bb.0:
	s_clause 0x1
	s_load_b32 s2, s[0:1], 0x1c
	s_load_b128 s[4:7], s[0:1], 0x0
	v_lshrrev_b32_e32 v1, 1, v0
	s_wait_xcnt 0x0
	s_bfe_u32 s0, ttmp6, 0x4000c
	s_and_b32 s1, ttmp6, 15
	s_add_co_i32 s0, s0, 1
	s_getreg_b32 s3, hwreg(HW_REG_IB_STS2, 6, 4)
	v_and_b32_e32 v1, 0x1fc, v1
	s_mul_i32 s0, ttmp9, s0
	v_mbcnt_lo_u32_b32 v3, -1, 0
	s_add_co_i32 s1, s1, s0
	s_wait_kmcnt 0x0
	s_and_b32 s0, s2, 0xffff
	s_cmp_eq_u32 s3, 0
	global_load_b32 v1, v1, s[6:7]
	s_cselect_b32 s1, ttmp9, s1
	s_delay_alu instid0(SALU_CYCLE_1) | instskip(SKIP_4) | instid1(VALU_DEP_1)
	v_mad_u32 v0, s1, s0, v0
	global_load_b32 v2, v0, s[4:5] scale_offset
	s_wait_loadcnt 0x1
	s_wait_xcnt 0x1
	v_and_b32_e32 v1, 7, v1
	v_and_or_b32 v1, v3, 24, v1
	s_delay_alu instid0(VALU_DEP_1)
	v_lshlrev_b32_e32 v1, 2, v1
	s_wait_loadcnt 0x0
	ds_bpermute_b32 v1, v1, v2
	s_wait_dscnt 0x0
	global_store_b32 v0, v1, s[4:5] scale_offset
	s_endpgm
	.section	.rodata,"a",@progbits
	.p2align	6, 0x0
	.amdhsa_kernel _Z20shuffle_index_kernelILj8EiEvPT0_Pi
		.amdhsa_group_segment_fixed_size 0
		.amdhsa_private_segment_fixed_size 0
		.amdhsa_kernarg_size 272
		.amdhsa_user_sgpr_count 2
		.amdhsa_user_sgpr_dispatch_ptr 0
		.amdhsa_user_sgpr_queue_ptr 0
		.amdhsa_user_sgpr_kernarg_segment_ptr 1
		.amdhsa_user_sgpr_dispatch_id 0
		.amdhsa_user_sgpr_kernarg_preload_length 0
		.amdhsa_user_sgpr_kernarg_preload_offset 0
		.amdhsa_user_sgpr_private_segment_size 0
		.amdhsa_wavefront_size32 1
		.amdhsa_uses_dynamic_stack 0
		.amdhsa_enable_private_segment 0
		.amdhsa_system_sgpr_workgroup_id_x 1
		.amdhsa_system_sgpr_workgroup_id_y 0
		.amdhsa_system_sgpr_workgroup_id_z 0
		.amdhsa_system_sgpr_workgroup_info 0
		.amdhsa_system_vgpr_workitem_id 0
		.amdhsa_next_free_vgpr 4
		.amdhsa_next_free_sgpr 8
		.amdhsa_named_barrier_count 0
		.amdhsa_reserve_vcc 0
		.amdhsa_float_round_mode_32 0
		.amdhsa_float_round_mode_16_64 0
		.amdhsa_float_denorm_mode_32 3
		.amdhsa_float_denorm_mode_16_64 3
		.amdhsa_fp16_overflow 0
		.amdhsa_memory_ordered 1
		.amdhsa_forward_progress 1
		.amdhsa_inst_pref_size 2
		.amdhsa_round_robin_scheduling 0
		.amdhsa_exception_fp_ieee_invalid_op 0
		.amdhsa_exception_fp_denorm_src 0
		.amdhsa_exception_fp_ieee_div_zero 0
		.amdhsa_exception_fp_ieee_overflow 0
		.amdhsa_exception_fp_ieee_underflow 0
		.amdhsa_exception_fp_ieee_inexact 0
		.amdhsa_exception_int_div_zero 0
	.end_amdhsa_kernel
	.section	.text._Z20shuffle_index_kernelILj8EiEvPT0_Pi,"axG",@progbits,_Z20shuffle_index_kernelILj8EiEvPT0_Pi,comdat
.Lfunc_end43:
	.size	_Z20shuffle_index_kernelILj8EiEvPT0_Pi, .Lfunc_end43-_Z20shuffle_index_kernelILj8EiEvPT0_Pi
                                        ; -- End function
	.set _Z20shuffle_index_kernelILj8EiEvPT0_Pi.num_vgpr, 4
	.set _Z20shuffle_index_kernelILj8EiEvPT0_Pi.num_agpr, 0
	.set _Z20shuffle_index_kernelILj8EiEvPT0_Pi.numbered_sgpr, 8
	.set _Z20shuffle_index_kernelILj8EiEvPT0_Pi.num_named_barrier, 0
	.set _Z20shuffle_index_kernelILj8EiEvPT0_Pi.private_seg_size, 0
	.set _Z20shuffle_index_kernelILj8EiEvPT0_Pi.uses_vcc, 0
	.set _Z20shuffle_index_kernelILj8EiEvPT0_Pi.uses_flat_scratch, 0
	.set _Z20shuffle_index_kernelILj8EiEvPT0_Pi.has_dyn_sized_stack, 0
	.set _Z20shuffle_index_kernelILj8EiEvPT0_Pi.has_recursion, 0
	.set _Z20shuffle_index_kernelILj8EiEvPT0_Pi.has_indirect_call, 0
	.section	.AMDGPU.csdata,"",@progbits
; Kernel info:
; codeLenInByte = 188
; TotalNumSgprs: 8
; NumVgprs: 4
; ScratchSize: 0
; MemoryBound: 0
; FloatMode: 240
; IeeeMode: 1
; LDSByteSize: 0 bytes/workgroup (compile time only)
; SGPRBlocks: 0
; VGPRBlocks: 0
; NumSGPRsForWavesPerEU: 8
; NumVGPRsForWavesPerEU: 4
; NamedBarCnt: 0
; Occupancy: 16
; WaveLimiterHint : 0
; COMPUTE_PGM_RSRC2:SCRATCH_EN: 0
; COMPUTE_PGM_RSRC2:USER_SGPR: 2
; COMPUTE_PGM_RSRC2:TRAP_HANDLER: 0
; COMPUTE_PGM_RSRC2:TGID_X_EN: 1
; COMPUTE_PGM_RSRC2:TGID_Y_EN: 0
; COMPUTE_PGM_RSRC2:TGID_Z_EN: 0
; COMPUTE_PGM_RSRC2:TIDIG_COMP_CNT: 0
	.section	.text._Z20shuffle_index_kernelILj16EiEvPT0_Pi,"axG",@progbits,_Z20shuffle_index_kernelILj16EiEvPT0_Pi,comdat
	.protected	_Z20shuffle_index_kernelILj16EiEvPT0_Pi ; -- Begin function _Z20shuffle_index_kernelILj16EiEvPT0_Pi
	.globl	_Z20shuffle_index_kernelILj16EiEvPT0_Pi
	.p2align	8
	.type	_Z20shuffle_index_kernelILj16EiEvPT0_Pi,@function
_Z20shuffle_index_kernelILj16EiEvPT0_Pi: ; @_Z20shuffle_index_kernelILj16EiEvPT0_Pi
; %bb.0:
	s_clause 0x1
	s_load_b32 s2, s[0:1], 0x1c
	s_load_b128 s[4:7], s[0:1], 0x0
	v_lshrrev_b32_e32 v1, 2, v0
	s_wait_xcnt 0x0
	s_bfe_u32 s0, ttmp6, 0x4000c
	s_and_b32 s1, ttmp6, 15
	s_add_co_i32 s0, s0, 1
	s_getreg_b32 s3, hwreg(HW_REG_IB_STS2, 6, 4)
	v_and_b32_e32 v1, 0xfc, v1
	s_mul_i32 s0, ttmp9, s0
	v_mbcnt_lo_u32_b32 v3, -1, 0
	s_add_co_i32 s1, s1, s0
	s_wait_kmcnt 0x0
	s_and_b32 s0, s2, 0xffff
	s_cmp_eq_u32 s3, 0
	global_load_b32 v1, v1, s[6:7]
	s_cselect_b32 s1, ttmp9, s1
	s_delay_alu instid0(SALU_CYCLE_1) | instskip(SKIP_4) | instid1(VALU_DEP_1)
	v_mad_u32 v0, s1, s0, v0
	global_load_b32 v2, v0, s[4:5] scale_offset
	s_wait_loadcnt 0x1
	s_wait_xcnt 0x1
	v_and_b32_e32 v1, 15, v1
	v_and_or_b32 v1, v3, 16, v1
	s_delay_alu instid0(VALU_DEP_1)
	v_lshlrev_b32_e32 v1, 2, v1
	s_wait_loadcnt 0x0
	ds_bpermute_b32 v1, v1, v2
	s_wait_dscnt 0x0
	global_store_b32 v0, v1, s[4:5] scale_offset
	s_endpgm
	.section	.rodata,"a",@progbits
	.p2align	6, 0x0
	.amdhsa_kernel _Z20shuffle_index_kernelILj16EiEvPT0_Pi
		.amdhsa_group_segment_fixed_size 0
		.amdhsa_private_segment_fixed_size 0
		.amdhsa_kernarg_size 272
		.amdhsa_user_sgpr_count 2
		.amdhsa_user_sgpr_dispatch_ptr 0
		.amdhsa_user_sgpr_queue_ptr 0
		.amdhsa_user_sgpr_kernarg_segment_ptr 1
		.amdhsa_user_sgpr_dispatch_id 0
		.amdhsa_user_sgpr_kernarg_preload_length 0
		.amdhsa_user_sgpr_kernarg_preload_offset 0
		.amdhsa_user_sgpr_private_segment_size 0
		.amdhsa_wavefront_size32 1
		.amdhsa_uses_dynamic_stack 0
		.amdhsa_enable_private_segment 0
		.amdhsa_system_sgpr_workgroup_id_x 1
		.amdhsa_system_sgpr_workgroup_id_y 0
		.amdhsa_system_sgpr_workgroup_id_z 0
		.amdhsa_system_sgpr_workgroup_info 0
		.amdhsa_system_vgpr_workitem_id 0
		.amdhsa_next_free_vgpr 4
		.amdhsa_next_free_sgpr 8
		.amdhsa_named_barrier_count 0
		.amdhsa_reserve_vcc 0
		.amdhsa_float_round_mode_32 0
		.amdhsa_float_round_mode_16_64 0
		.amdhsa_float_denorm_mode_32 3
		.amdhsa_float_denorm_mode_16_64 3
		.amdhsa_fp16_overflow 0
		.amdhsa_memory_ordered 1
		.amdhsa_forward_progress 1
		.amdhsa_inst_pref_size 2
		.amdhsa_round_robin_scheduling 0
		.amdhsa_exception_fp_ieee_invalid_op 0
		.amdhsa_exception_fp_denorm_src 0
		.amdhsa_exception_fp_ieee_div_zero 0
		.amdhsa_exception_fp_ieee_overflow 0
		.amdhsa_exception_fp_ieee_underflow 0
		.amdhsa_exception_fp_ieee_inexact 0
		.amdhsa_exception_int_div_zero 0
	.end_amdhsa_kernel
	.section	.text._Z20shuffle_index_kernelILj16EiEvPT0_Pi,"axG",@progbits,_Z20shuffle_index_kernelILj16EiEvPT0_Pi,comdat
.Lfunc_end44:
	.size	_Z20shuffle_index_kernelILj16EiEvPT0_Pi, .Lfunc_end44-_Z20shuffle_index_kernelILj16EiEvPT0_Pi
                                        ; -- End function
	.set _Z20shuffle_index_kernelILj16EiEvPT0_Pi.num_vgpr, 4
	.set _Z20shuffle_index_kernelILj16EiEvPT0_Pi.num_agpr, 0
	.set _Z20shuffle_index_kernelILj16EiEvPT0_Pi.numbered_sgpr, 8
	.set _Z20shuffle_index_kernelILj16EiEvPT0_Pi.num_named_barrier, 0
	.set _Z20shuffle_index_kernelILj16EiEvPT0_Pi.private_seg_size, 0
	.set _Z20shuffle_index_kernelILj16EiEvPT0_Pi.uses_vcc, 0
	.set _Z20shuffle_index_kernelILj16EiEvPT0_Pi.uses_flat_scratch, 0
	.set _Z20shuffle_index_kernelILj16EiEvPT0_Pi.has_dyn_sized_stack, 0
	.set _Z20shuffle_index_kernelILj16EiEvPT0_Pi.has_recursion, 0
	.set _Z20shuffle_index_kernelILj16EiEvPT0_Pi.has_indirect_call, 0
	.section	.AMDGPU.csdata,"",@progbits
; Kernel info:
; codeLenInByte = 188
; TotalNumSgprs: 8
; NumVgprs: 4
; ScratchSize: 0
; MemoryBound: 0
; FloatMode: 240
; IeeeMode: 1
; LDSByteSize: 0 bytes/workgroup (compile time only)
; SGPRBlocks: 0
; VGPRBlocks: 0
; NumSGPRsForWavesPerEU: 8
; NumVGPRsForWavesPerEU: 4
; NamedBarCnt: 0
; Occupancy: 16
; WaveLimiterHint : 0
; COMPUTE_PGM_RSRC2:SCRATCH_EN: 0
; COMPUTE_PGM_RSRC2:USER_SGPR: 2
; COMPUTE_PGM_RSRC2:TRAP_HANDLER: 0
; COMPUTE_PGM_RSRC2:TGID_X_EN: 1
; COMPUTE_PGM_RSRC2:TGID_Y_EN: 0
; COMPUTE_PGM_RSRC2:TGID_Z_EN: 0
; COMPUTE_PGM_RSRC2:TIDIG_COMP_CNT: 0
	.section	.text._Z20shuffle_index_kernelILj32EiEvPT0_Pi,"axG",@progbits,_Z20shuffle_index_kernelILj32EiEvPT0_Pi,comdat
	.protected	_Z20shuffle_index_kernelILj32EiEvPT0_Pi ; -- Begin function _Z20shuffle_index_kernelILj32EiEvPT0_Pi
	.globl	_Z20shuffle_index_kernelILj32EiEvPT0_Pi
	.p2align	8
	.type	_Z20shuffle_index_kernelILj32EiEvPT0_Pi,@function
_Z20shuffle_index_kernelILj32EiEvPT0_Pi: ; @_Z20shuffle_index_kernelILj32EiEvPT0_Pi
; %bb.0:
	s_clause 0x1
	s_load_b32 s2, s[0:1], 0x1c
	s_load_b128 s[4:7], s[0:1], 0x0
	s_wait_xcnt 0x0
	s_bfe_u32 s0, ttmp6, 0x4000c
	s_and_b32 s1, ttmp6, 15
	s_add_co_i32 s0, s0, 1
	s_getreg_b32 s3, hwreg(HW_REG_IB_STS2, 6, 4)
	s_mul_i32 s0, ttmp9, s0
	v_lshrrev_b32_e32 v1, 3, v0
	s_add_co_i32 s1, s1, s0
	s_delay_alu instid0(VALU_DEP_1) | instskip(SKIP_4) | instid1(SALU_CYCLE_1)
	v_and_b32_e32 v1, 0x7c, v1
	s_wait_kmcnt 0x0
	s_and_b32 s0, s2, 0xffff
	s_cmp_eq_u32 s3, 0
	s_cselect_b32 s1, ttmp9, s1
	v_mad_u32 v0, s1, s0, v0
	global_load_b32 v2, v1, s[6:7]
	global_load_b32 v3, v0, s[4:5] scale_offset
	s_wait_loadcnt 0x1
	s_wait_xcnt 0x1
	v_and_b32_e32 v1, 31, v2
	s_delay_alu instid0(VALU_DEP_1)
	v_lshlrev_b32_e32 v1, 2, v1
	s_wait_loadcnt 0x0
	ds_bpermute_b32 v1, v1, v3
	s_wait_dscnt 0x0
	global_store_b32 v0, v1, s[4:5] scale_offset
	s_endpgm
	.section	.rodata,"a",@progbits
	.p2align	6, 0x0
	.amdhsa_kernel _Z20shuffle_index_kernelILj32EiEvPT0_Pi
		.amdhsa_group_segment_fixed_size 0
		.amdhsa_private_segment_fixed_size 0
		.amdhsa_kernarg_size 272
		.amdhsa_user_sgpr_count 2
		.amdhsa_user_sgpr_dispatch_ptr 0
		.amdhsa_user_sgpr_queue_ptr 0
		.amdhsa_user_sgpr_kernarg_segment_ptr 1
		.amdhsa_user_sgpr_dispatch_id 0
		.amdhsa_user_sgpr_kernarg_preload_length 0
		.amdhsa_user_sgpr_kernarg_preload_offset 0
		.amdhsa_user_sgpr_private_segment_size 0
		.amdhsa_wavefront_size32 1
		.amdhsa_uses_dynamic_stack 0
		.amdhsa_enable_private_segment 0
		.amdhsa_system_sgpr_workgroup_id_x 1
		.amdhsa_system_sgpr_workgroup_id_y 0
		.amdhsa_system_sgpr_workgroup_id_z 0
		.amdhsa_system_sgpr_workgroup_info 0
		.amdhsa_system_vgpr_workitem_id 0
		.amdhsa_next_free_vgpr 4
		.amdhsa_next_free_sgpr 8
		.amdhsa_named_barrier_count 0
		.amdhsa_reserve_vcc 0
		.amdhsa_float_round_mode_32 0
		.amdhsa_float_round_mode_16_64 0
		.amdhsa_float_denorm_mode_32 3
		.amdhsa_float_denorm_mode_16_64 3
		.amdhsa_fp16_overflow 0
		.amdhsa_memory_ordered 1
		.amdhsa_forward_progress 1
		.amdhsa_inst_pref_size 2
		.amdhsa_round_robin_scheduling 0
		.amdhsa_exception_fp_ieee_invalid_op 0
		.amdhsa_exception_fp_denorm_src 0
		.amdhsa_exception_fp_ieee_div_zero 0
		.amdhsa_exception_fp_ieee_overflow 0
		.amdhsa_exception_fp_ieee_underflow 0
		.amdhsa_exception_fp_ieee_inexact 0
		.amdhsa_exception_int_div_zero 0
	.end_amdhsa_kernel
	.section	.text._Z20shuffle_index_kernelILj32EiEvPT0_Pi,"axG",@progbits,_Z20shuffle_index_kernelILj32EiEvPT0_Pi,comdat
.Lfunc_end45:
	.size	_Z20shuffle_index_kernelILj32EiEvPT0_Pi, .Lfunc_end45-_Z20shuffle_index_kernelILj32EiEvPT0_Pi
                                        ; -- End function
	.set _Z20shuffle_index_kernelILj32EiEvPT0_Pi.num_vgpr, 4
	.set _Z20shuffle_index_kernelILj32EiEvPT0_Pi.num_agpr, 0
	.set _Z20shuffle_index_kernelILj32EiEvPT0_Pi.numbered_sgpr, 8
	.set _Z20shuffle_index_kernelILj32EiEvPT0_Pi.num_named_barrier, 0
	.set _Z20shuffle_index_kernelILj32EiEvPT0_Pi.private_seg_size, 0
	.set _Z20shuffle_index_kernelILj32EiEvPT0_Pi.uses_vcc, 0
	.set _Z20shuffle_index_kernelILj32EiEvPT0_Pi.uses_flat_scratch, 0
	.set _Z20shuffle_index_kernelILj32EiEvPT0_Pi.has_dyn_sized_stack, 0
	.set _Z20shuffle_index_kernelILj32EiEvPT0_Pi.has_recursion, 0
	.set _Z20shuffle_index_kernelILj32EiEvPT0_Pi.has_indirect_call, 0
	.section	.AMDGPU.csdata,"",@progbits
; Kernel info:
; codeLenInByte = 172
; TotalNumSgprs: 8
; NumVgprs: 4
; ScratchSize: 0
; MemoryBound: 0
; FloatMode: 240
; IeeeMode: 1
; LDSByteSize: 0 bytes/workgroup (compile time only)
; SGPRBlocks: 0
; VGPRBlocks: 0
; NumSGPRsForWavesPerEU: 8
; NumVGPRsForWavesPerEU: 4
; NamedBarCnt: 0
; Occupancy: 16
; WaveLimiterHint : 0
; COMPUTE_PGM_RSRC2:SCRATCH_EN: 0
; COMPUTE_PGM_RSRC2:USER_SGPR: 2
; COMPUTE_PGM_RSRC2:TRAP_HANDLER: 0
; COMPUTE_PGM_RSRC2:TGID_X_EN: 1
; COMPUTE_PGM_RSRC2:TGID_Y_EN: 0
; COMPUTE_PGM_RSRC2:TGID_Z_EN: 0
; COMPUTE_PGM_RSRC2:TIDIG_COMP_CNT: 0
	.section	.text._Z17shuffle_up_kernelILj32E17custom_notalignedEvPT0_j,"axG",@progbits,_Z17shuffle_up_kernelILj32E17custom_notalignedEvPT0_j,comdat
	.protected	_Z17shuffle_up_kernelILj32E17custom_notalignedEvPT0_j ; -- Begin function _Z17shuffle_up_kernelILj32E17custom_notalignedEvPT0_j
	.globl	_Z17shuffle_up_kernelILj32E17custom_notalignedEvPT0_j
	.p2align	8
	.type	_Z17shuffle_up_kernelILj32E17custom_notalignedEvPT0_j,@function
_Z17shuffle_up_kernelILj32E17custom_notalignedEvPT0_j: ; @_Z17shuffle_up_kernelILj32E17custom_notalignedEvPT0_j
; %bb.0:
	s_load_b32 s3, s[0:1], 0x1c
	s_bfe_u32 s4, ttmp6, 0x4000c
	s_wait_xcnt 0x0
	s_load_b96 s[0:2], s[0:1], 0x0
	s_add_co_i32 s4, s4, 1
	s_and_b32 s5, ttmp6, 15
	s_mul_i32 s4, ttmp9, s4
	s_getreg_b32 s6, hwreg(HW_REG_IB_STS2, 6, 4)
	s_add_co_i32 s5, s5, s4
	v_mbcnt_lo_u32_b32 v8, -1, 0
	s_wait_kmcnt 0x0
	s_and_b32 s3, s3, 0xffff
	s_cmp_eq_u32 s6, 0
	s_delay_alu instid0(VALU_DEP_1) | instskip(SKIP_1) | instid1(SALU_CYCLE_1)
	v_subrev_nc_u32_e32 v9, s2, v8
	s_cselect_b32 s4, ttmp9, s5
	v_mad_u32 v0, s4, s3, v0
	s_delay_alu instid0(VALU_DEP_2) | instskip(SKIP_1) | instid1(VALU_DEP_3)
	v_cmp_gt_i32_e32 vcc_lo, 0, v9
	v_cndmask_b32_e32 v8, v9, v8, vcc_lo
	v_mad_nc_u64_u32 v[4:5], v0, 24, s[0:1]
	s_delay_alu instid0(VALU_DEP_2)
	v_lshlrev_b32_e32 v8, 2, v8
	s_clause 0x1
	global_load_b128 v[0:3], v[4:5], off
	global_load_b64 v[6:7], v[4:5], off offset:16
	s_wait_loadcnt 0x1
	ds_bpermute_b32 v0, v8, v0
	ds_bpermute_b32 v1, v8, v1
	;; [unrolled: 1-line block ×4, first 2 shown]
	s_wait_loadcnt 0x0
	ds_bpermute_b32 v6, v8, v6
	ds_bpermute_b32 v7, v8, v7
	s_wait_dscnt 0x2
	global_store_b128 v[4:5], v[0:3], off
	s_wait_dscnt 0x0
	global_store_b64 v[4:5], v[6:7], off offset:16
	s_endpgm
	.section	.rodata,"a",@progbits
	.p2align	6, 0x0
	.amdhsa_kernel _Z17shuffle_up_kernelILj32E17custom_notalignedEvPT0_j
		.amdhsa_group_segment_fixed_size 0
		.amdhsa_private_segment_fixed_size 0
		.amdhsa_kernarg_size 272
		.amdhsa_user_sgpr_count 2
		.amdhsa_user_sgpr_dispatch_ptr 0
		.amdhsa_user_sgpr_queue_ptr 0
		.amdhsa_user_sgpr_kernarg_segment_ptr 1
		.amdhsa_user_sgpr_dispatch_id 0
		.amdhsa_user_sgpr_kernarg_preload_length 0
		.amdhsa_user_sgpr_kernarg_preload_offset 0
		.amdhsa_user_sgpr_private_segment_size 0
		.amdhsa_wavefront_size32 1
		.amdhsa_uses_dynamic_stack 0
		.amdhsa_enable_private_segment 0
		.amdhsa_system_sgpr_workgroup_id_x 1
		.amdhsa_system_sgpr_workgroup_id_y 0
		.amdhsa_system_sgpr_workgroup_id_z 0
		.amdhsa_system_sgpr_workgroup_info 0
		.amdhsa_system_vgpr_workitem_id 0
		.amdhsa_next_free_vgpr 10
		.amdhsa_next_free_sgpr 7
		.amdhsa_named_barrier_count 0
		.amdhsa_reserve_vcc 1
		.amdhsa_float_round_mode_32 0
		.amdhsa_float_round_mode_16_64 0
		.amdhsa_float_denorm_mode_32 3
		.amdhsa_float_denorm_mode_16_64 3
		.amdhsa_fp16_overflow 0
		.amdhsa_memory_ordered 1
		.amdhsa_forward_progress 1
		.amdhsa_inst_pref_size 2
		.amdhsa_round_robin_scheduling 0
		.amdhsa_exception_fp_ieee_invalid_op 0
		.amdhsa_exception_fp_denorm_src 0
		.amdhsa_exception_fp_ieee_div_zero 0
		.amdhsa_exception_fp_ieee_overflow 0
		.amdhsa_exception_fp_ieee_underflow 0
		.amdhsa_exception_fp_ieee_inexact 0
		.amdhsa_exception_int_div_zero 0
	.end_amdhsa_kernel
	.section	.text._Z17shuffle_up_kernelILj32E17custom_notalignedEvPT0_j,"axG",@progbits,_Z17shuffle_up_kernelILj32E17custom_notalignedEvPT0_j,comdat
.Lfunc_end46:
	.size	_Z17shuffle_up_kernelILj32E17custom_notalignedEvPT0_j, .Lfunc_end46-_Z17shuffle_up_kernelILj32E17custom_notalignedEvPT0_j
                                        ; -- End function
	.set _Z17shuffle_up_kernelILj32E17custom_notalignedEvPT0_j.num_vgpr, 10
	.set _Z17shuffle_up_kernelILj32E17custom_notalignedEvPT0_j.num_agpr, 0
	.set _Z17shuffle_up_kernelILj32E17custom_notalignedEvPT0_j.numbered_sgpr, 7
	.set _Z17shuffle_up_kernelILj32E17custom_notalignedEvPT0_j.num_named_barrier, 0
	.set _Z17shuffle_up_kernelILj32E17custom_notalignedEvPT0_j.private_seg_size, 0
	.set _Z17shuffle_up_kernelILj32E17custom_notalignedEvPT0_j.uses_vcc, 1
	.set _Z17shuffle_up_kernelILj32E17custom_notalignedEvPT0_j.uses_flat_scratch, 0
	.set _Z17shuffle_up_kernelILj32E17custom_notalignedEvPT0_j.has_dyn_sized_stack, 0
	.set _Z17shuffle_up_kernelILj32E17custom_notalignedEvPT0_j.has_recursion, 0
	.set _Z17shuffle_up_kernelILj32E17custom_notalignedEvPT0_j.has_indirect_call, 0
	.section	.AMDGPU.csdata,"",@progbits
; Kernel info:
; codeLenInByte = 240
; TotalNumSgprs: 9
; NumVgprs: 10
; ScratchSize: 0
; MemoryBound: 0
; FloatMode: 240
; IeeeMode: 1
; LDSByteSize: 0 bytes/workgroup (compile time only)
; SGPRBlocks: 0
; VGPRBlocks: 0
; NumSGPRsForWavesPerEU: 9
; NumVGPRsForWavesPerEU: 10
; NamedBarCnt: 0
; Occupancy: 16
; WaveLimiterHint : 0
; COMPUTE_PGM_RSRC2:SCRATCH_EN: 0
; COMPUTE_PGM_RSRC2:USER_SGPR: 2
; COMPUTE_PGM_RSRC2:TRAP_HANDLER: 0
; COMPUTE_PGM_RSRC2:TGID_X_EN: 1
; COMPUTE_PGM_RSRC2:TGID_Y_EN: 0
; COMPUTE_PGM_RSRC2:TGID_Z_EN: 0
; COMPUTE_PGM_RSRC2:TIDIG_COMP_CNT: 0
	.section	.text._Z17shuffle_up_kernelILj64E17custom_notalignedEvPT0_j,"axG",@progbits,_Z17shuffle_up_kernelILj64E17custom_notalignedEvPT0_j,comdat
	.protected	_Z17shuffle_up_kernelILj64E17custom_notalignedEvPT0_j ; -- Begin function _Z17shuffle_up_kernelILj64E17custom_notalignedEvPT0_j
	.globl	_Z17shuffle_up_kernelILj64E17custom_notalignedEvPT0_j
	.p2align	8
	.type	_Z17shuffle_up_kernelILj64E17custom_notalignedEvPT0_j,@function
_Z17shuffle_up_kernelILj64E17custom_notalignedEvPT0_j: ; @_Z17shuffle_up_kernelILj64E17custom_notalignedEvPT0_j
; %bb.0:
	s_load_b32 s3, s[0:1], 0x1c
	s_bfe_u32 s4, ttmp6, 0x4000c
	s_wait_xcnt 0x0
	s_load_b96 s[0:2], s[0:1], 0x0
	s_add_co_i32 s4, s4, 1
	s_and_b32 s5, ttmp6, 15
	s_mul_i32 s4, ttmp9, s4
	s_getreg_b32 s6, hwreg(HW_REG_IB_STS2, 6, 4)
	s_add_co_i32 s5, s5, s4
	v_mbcnt_lo_u32_b32 v8, -1, 0
	s_wait_kmcnt 0x0
	s_and_b32 s3, s3, 0xffff
	s_cmp_eq_u32 s6, 0
	s_delay_alu instid0(VALU_DEP_1) | instskip(SKIP_1) | instid1(SALU_CYCLE_1)
	v_subrev_nc_u32_e32 v9, s2, v8
	s_cselect_b32 s4, ttmp9, s5
	v_mad_u32 v0, s4, s3, v0
	s_delay_alu instid0(VALU_DEP_2) | instskip(SKIP_1) | instid1(VALU_DEP_3)
	v_cmp_gt_i32_e32 vcc_lo, 0, v9
	v_cndmask_b32_e32 v8, v9, v8, vcc_lo
	v_mad_nc_u64_u32 v[4:5], v0, 24, s[0:1]
	s_delay_alu instid0(VALU_DEP_2)
	v_lshlrev_b32_e32 v8, 2, v8
	s_clause 0x1
	global_load_b128 v[0:3], v[4:5], off
	global_load_b64 v[6:7], v[4:5], off offset:16
	s_wait_loadcnt 0x1
	ds_bpermute_b32 v0, v8, v0
	ds_bpermute_b32 v1, v8, v1
	ds_bpermute_b32 v2, v8, v2
	ds_bpermute_b32 v3, v8, v3
	s_wait_loadcnt 0x0
	ds_bpermute_b32 v6, v8, v6
	ds_bpermute_b32 v7, v8, v7
	s_wait_dscnt 0x2
	global_store_b128 v[4:5], v[0:3], off
	s_wait_dscnt 0x0
	global_store_b64 v[4:5], v[6:7], off offset:16
	s_endpgm
	.section	.rodata,"a",@progbits
	.p2align	6, 0x0
	.amdhsa_kernel _Z17shuffle_up_kernelILj64E17custom_notalignedEvPT0_j
		.amdhsa_group_segment_fixed_size 0
		.amdhsa_private_segment_fixed_size 0
		.amdhsa_kernarg_size 272
		.amdhsa_user_sgpr_count 2
		.amdhsa_user_sgpr_dispatch_ptr 0
		.amdhsa_user_sgpr_queue_ptr 0
		.amdhsa_user_sgpr_kernarg_segment_ptr 1
		.amdhsa_user_sgpr_dispatch_id 0
		.amdhsa_user_sgpr_kernarg_preload_length 0
		.amdhsa_user_sgpr_kernarg_preload_offset 0
		.amdhsa_user_sgpr_private_segment_size 0
		.amdhsa_wavefront_size32 1
		.amdhsa_uses_dynamic_stack 0
		.amdhsa_enable_private_segment 0
		.amdhsa_system_sgpr_workgroup_id_x 1
		.amdhsa_system_sgpr_workgroup_id_y 0
		.amdhsa_system_sgpr_workgroup_id_z 0
		.amdhsa_system_sgpr_workgroup_info 0
		.amdhsa_system_vgpr_workitem_id 0
		.amdhsa_next_free_vgpr 10
		.amdhsa_next_free_sgpr 7
		.amdhsa_named_barrier_count 0
		.amdhsa_reserve_vcc 1
		.amdhsa_float_round_mode_32 0
		.amdhsa_float_round_mode_16_64 0
		.amdhsa_float_denorm_mode_32 3
		.amdhsa_float_denorm_mode_16_64 3
		.amdhsa_fp16_overflow 0
		.amdhsa_memory_ordered 1
		.amdhsa_forward_progress 1
		.amdhsa_inst_pref_size 2
		.amdhsa_round_robin_scheduling 0
		.amdhsa_exception_fp_ieee_invalid_op 0
		.amdhsa_exception_fp_denorm_src 0
		.amdhsa_exception_fp_ieee_div_zero 0
		.amdhsa_exception_fp_ieee_overflow 0
		.amdhsa_exception_fp_ieee_underflow 0
		.amdhsa_exception_fp_ieee_inexact 0
		.amdhsa_exception_int_div_zero 0
	.end_amdhsa_kernel
	.section	.text._Z17shuffle_up_kernelILj64E17custom_notalignedEvPT0_j,"axG",@progbits,_Z17shuffle_up_kernelILj64E17custom_notalignedEvPT0_j,comdat
.Lfunc_end47:
	.size	_Z17shuffle_up_kernelILj64E17custom_notalignedEvPT0_j, .Lfunc_end47-_Z17shuffle_up_kernelILj64E17custom_notalignedEvPT0_j
                                        ; -- End function
	.set _Z17shuffle_up_kernelILj64E17custom_notalignedEvPT0_j.num_vgpr, 10
	.set _Z17shuffle_up_kernelILj64E17custom_notalignedEvPT0_j.num_agpr, 0
	.set _Z17shuffle_up_kernelILj64E17custom_notalignedEvPT0_j.numbered_sgpr, 7
	.set _Z17shuffle_up_kernelILj64E17custom_notalignedEvPT0_j.num_named_barrier, 0
	.set _Z17shuffle_up_kernelILj64E17custom_notalignedEvPT0_j.private_seg_size, 0
	.set _Z17shuffle_up_kernelILj64E17custom_notalignedEvPT0_j.uses_vcc, 1
	.set _Z17shuffle_up_kernelILj64E17custom_notalignedEvPT0_j.uses_flat_scratch, 0
	.set _Z17shuffle_up_kernelILj64E17custom_notalignedEvPT0_j.has_dyn_sized_stack, 0
	.set _Z17shuffle_up_kernelILj64E17custom_notalignedEvPT0_j.has_recursion, 0
	.set _Z17shuffle_up_kernelILj64E17custom_notalignedEvPT0_j.has_indirect_call, 0
	.section	.AMDGPU.csdata,"",@progbits
; Kernel info:
; codeLenInByte = 240
; TotalNumSgprs: 9
; NumVgprs: 10
; ScratchSize: 0
; MemoryBound: 0
; FloatMode: 240
; IeeeMode: 1
; LDSByteSize: 0 bytes/workgroup (compile time only)
; SGPRBlocks: 0
; VGPRBlocks: 0
; NumSGPRsForWavesPerEU: 9
; NumVGPRsForWavesPerEU: 10
; NamedBarCnt: 0
; Occupancy: 16
; WaveLimiterHint : 0
; COMPUTE_PGM_RSRC2:SCRATCH_EN: 0
; COMPUTE_PGM_RSRC2:USER_SGPR: 2
; COMPUTE_PGM_RSRC2:TRAP_HANDLER: 0
; COMPUTE_PGM_RSRC2:TGID_X_EN: 1
; COMPUTE_PGM_RSRC2:TGID_Y_EN: 0
; COMPUTE_PGM_RSRC2:TGID_Z_EN: 0
; COMPUTE_PGM_RSRC2:TIDIG_COMP_CNT: 0
	.section	.text._Z17shuffle_up_kernelILj32E16custom_16alignedEvPT0_j,"axG",@progbits,_Z17shuffle_up_kernelILj32E16custom_16alignedEvPT0_j,comdat
	.protected	_Z17shuffle_up_kernelILj32E16custom_16alignedEvPT0_j ; -- Begin function _Z17shuffle_up_kernelILj32E16custom_16alignedEvPT0_j
	.globl	_Z17shuffle_up_kernelILj32E16custom_16alignedEvPT0_j
	.p2align	8
	.type	_Z17shuffle_up_kernelILj32E16custom_16alignedEvPT0_j,@function
_Z17shuffle_up_kernelILj32E16custom_16alignedEvPT0_j: ; @_Z17shuffle_up_kernelILj32E16custom_16alignedEvPT0_j
; %bb.0:
	s_load_b32 s3, s[0:1], 0x1c
	s_bfe_u32 s4, ttmp6, 0x4000c
	s_wait_xcnt 0x0
	s_load_b96 s[0:2], s[0:1], 0x0
	s_add_co_i32 s4, s4, 1
	s_and_b32 s5, ttmp6, 15
	s_mul_i32 s4, ttmp9, s4
	s_getreg_b32 s6, hwreg(HW_REG_IB_STS2, 6, 4)
	s_add_co_i32 s5, s5, s4
	v_mbcnt_lo_u32_b32 v3, -1, 0
	s_wait_kmcnt 0x0
	s_and_b32 s3, s3, 0xffff
	s_cmp_eq_u32 s6, 0
	s_delay_alu instid0(VALU_DEP_1) | instskip(SKIP_1) | instid1(SALU_CYCLE_1)
	v_subrev_nc_u32_e32 v6, s2, v3
	s_cselect_b32 s4, ttmp9, s5
	v_mad_u32 v0, s4, s3, v0
	s_delay_alu instid0(VALU_DEP_2) | instskip(SKIP_1) | instid1(VALU_DEP_1)
	v_cmp_gt_i32_e32 vcc_lo, 0, v6
	v_dual_mov_b32 v1, 0 :: v_dual_cndmask_b32 v3, v6, v3, vcc_lo
	v_lshl_add_u64 v[4:5], v[0:1], 4, s[0:1]
	s_delay_alu instid0(VALU_DEP_2)
	v_lshlrev_b32_e32 v3, 2, v3
	global_load_b96 v[0:2], v[4:5], off
	s_wait_loadcnt 0x0
	ds_bpermute_b32 v0, v3, v0
	ds_bpermute_b32 v1, v3, v1
	;; [unrolled: 1-line block ×3, first 2 shown]
	s_wait_dscnt 0x0
	global_store_b96 v[4:5], v[0:2], off
	s_endpgm
	.section	.rodata,"a",@progbits
	.p2align	6, 0x0
	.amdhsa_kernel _Z17shuffle_up_kernelILj32E16custom_16alignedEvPT0_j
		.amdhsa_group_segment_fixed_size 0
		.amdhsa_private_segment_fixed_size 0
		.amdhsa_kernarg_size 272
		.amdhsa_user_sgpr_count 2
		.amdhsa_user_sgpr_dispatch_ptr 0
		.amdhsa_user_sgpr_queue_ptr 0
		.amdhsa_user_sgpr_kernarg_segment_ptr 1
		.amdhsa_user_sgpr_dispatch_id 0
		.amdhsa_user_sgpr_kernarg_preload_length 0
		.amdhsa_user_sgpr_kernarg_preload_offset 0
		.amdhsa_user_sgpr_private_segment_size 0
		.amdhsa_wavefront_size32 1
		.amdhsa_uses_dynamic_stack 0
		.amdhsa_enable_private_segment 0
		.amdhsa_system_sgpr_workgroup_id_x 1
		.amdhsa_system_sgpr_workgroup_id_y 0
		.amdhsa_system_sgpr_workgroup_id_z 0
		.amdhsa_system_sgpr_workgroup_info 0
		.amdhsa_system_vgpr_workitem_id 0
		.amdhsa_next_free_vgpr 7
		.amdhsa_next_free_sgpr 7
		.amdhsa_named_barrier_count 0
		.amdhsa_reserve_vcc 1
		.amdhsa_float_round_mode_32 0
		.amdhsa_float_round_mode_16_64 0
		.amdhsa_float_denorm_mode_32 3
		.amdhsa_float_denorm_mode_16_64 3
		.amdhsa_fp16_overflow 0
		.amdhsa_memory_ordered 1
		.amdhsa_forward_progress 1
		.amdhsa_inst_pref_size 2
		.amdhsa_round_robin_scheduling 0
		.amdhsa_exception_fp_ieee_invalid_op 0
		.amdhsa_exception_fp_denorm_src 0
		.amdhsa_exception_fp_ieee_div_zero 0
		.amdhsa_exception_fp_ieee_overflow 0
		.amdhsa_exception_fp_ieee_underflow 0
		.amdhsa_exception_fp_ieee_inexact 0
		.amdhsa_exception_int_div_zero 0
	.end_amdhsa_kernel
	.section	.text._Z17shuffle_up_kernelILj32E16custom_16alignedEvPT0_j,"axG",@progbits,_Z17shuffle_up_kernelILj32E16custom_16alignedEvPT0_j,comdat
.Lfunc_end48:
	.size	_Z17shuffle_up_kernelILj32E16custom_16alignedEvPT0_j, .Lfunc_end48-_Z17shuffle_up_kernelILj32E16custom_16alignedEvPT0_j
                                        ; -- End function
	.set _Z17shuffle_up_kernelILj32E16custom_16alignedEvPT0_j.num_vgpr, 7
	.set _Z17shuffle_up_kernelILj32E16custom_16alignedEvPT0_j.num_agpr, 0
	.set _Z17shuffle_up_kernelILj32E16custom_16alignedEvPT0_j.numbered_sgpr, 7
	.set _Z17shuffle_up_kernelILj32E16custom_16alignedEvPT0_j.num_named_barrier, 0
	.set _Z17shuffle_up_kernelILj32E16custom_16alignedEvPT0_j.private_seg_size, 0
	.set _Z17shuffle_up_kernelILj32E16custom_16alignedEvPT0_j.uses_vcc, 1
	.set _Z17shuffle_up_kernelILj32E16custom_16alignedEvPT0_j.uses_flat_scratch, 0
	.set _Z17shuffle_up_kernelILj32E16custom_16alignedEvPT0_j.has_dyn_sized_stack, 0
	.set _Z17shuffle_up_kernelILj32E16custom_16alignedEvPT0_j.has_recursion, 0
	.set _Z17shuffle_up_kernelILj32E16custom_16alignedEvPT0_j.has_indirect_call, 0
	.section	.AMDGPU.csdata,"",@progbits
; Kernel info:
; codeLenInByte = 188
; TotalNumSgprs: 9
; NumVgprs: 7
; ScratchSize: 0
; MemoryBound: 0
; FloatMode: 240
; IeeeMode: 1
; LDSByteSize: 0 bytes/workgroup (compile time only)
; SGPRBlocks: 0
; VGPRBlocks: 0
; NumSGPRsForWavesPerEU: 9
; NumVGPRsForWavesPerEU: 7
; NamedBarCnt: 0
; Occupancy: 16
; WaveLimiterHint : 0
; COMPUTE_PGM_RSRC2:SCRATCH_EN: 0
; COMPUTE_PGM_RSRC2:USER_SGPR: 2
; COMPUTE_PGM_RSRC2:TRAP_HANDLER: 0
; COMPUTE_PGM_RSRC2:TGID_X_EN: 1
; COMPUTE_PGM_RSRC2:TGID_Y_EN: 0
; COMPUTE_PGM_RSRC2:TGID_Z_EN: 0
; COMPUTE_PGM_RSRC2:TIDIG_COMP_CNT: 0
	.section	.text._Z17shuffle_up_kernelILj64E16custom_16alignedEvPT0_j,"axG",@progbits,_Z17shuffle_up_kernelILj64E16custom_16alignedEvPT0_j,comdat
	.protected	_Z17shuffle_up_kernelILj64E16custom_16alignedEvPT0_j ; -- Begin function _Z17shuffle_up_kernelILj64E16custom_16alignedEvPT0_j
	.globl	_Z17shuffle_up_kernelILj64E16custom_16alignedEvPT0_j
	.p2align	8
	.type	_Z17shuffle_up_kernelILj64E16custom_16alignedEvPT0_j,@function
_Z17shuffle_up_kernelILj64E16custom_16alignedEvPT0_j: ; @_Z17shuffle_up_kernelILj64E16custom_16alignedEvPT0_j
; %bb.0:
	s_load_b32 s3, s[0:1], 0x1c
	s_bfe_u32 s4, ttmp6, 0x4000c
	s_wait_xcnt 0x0
	s_load_b96 s[0:2], s[0:1], 0x0
	s_add_co_i32 s4, s4, 1
	s_and_b32 s5, ttmp6, 15
	s_mul_i32 s4, ttmp9, s4
	s_getreg_b32 s6, hwreg(HW_REG_IB_STS2, 6, 4)
	s_add_co_i32 s5, s5, s4
	v_mbcnt_lo_u32_b32 v3, -1, 0
	s_wait_kmcnt 0x0
	s_and_b32 s3, s3, 0xffff
	s_cmp_eq_u32 s6, 0
	s_delay_alu instid0(VALU_DEP_1) | instskip(SKIP_1) | instid1(SALU_CYCLE_1)
	v_subrev_nc_u32_e32 v6, s2, v3
	s_cselect_b32 s4, ttmp9, s5
	v_mad_u32 v0, s4, s3, v0
	s_delay_alu instid0(VALU_DEP_2) | instskip(SKIP_1) | instid1(VALU_DEP_1)
	v_cmp_gt_i32_e32 vcc_lo, 0, v6
	v_dual_mov_b32 v1, 0 :: v_dual_cndmask_b32 v3, v6, v3, vcc_lo
	v_lshl_add_u64 v[4:5], v[0:1], 4, s[0:1]
	s_delay_alu instid0(VALU_DEP_2)
	v_lshlrev_b32_e32 v3, 2, v3
	global_load_b96 v[0:2], v[4:5], off
	s_wait_loadcnt 0x0
	ds_bpermute_b32 v0, v3, v0
	ds_bpermute_b32 v1, v3, v1
	;; [unrolled: 1-line block ×3, first 2 shown]
	s_wait_dscnt 0x0
	global_store_b96 v[4:5], v[0:2], off
	s_endpgm
	.section	.rodata,"a",@progbits
	.p2align	6, 0x0
	.amdhsa_kernel _Z17shuffle_up_kernelILj64E16custom_16alignedEvPT0_j
		.amdhsa_group_segment_fixed_size 0
		.amdhsa_private_segment_fixed_size 0
		.amdhsa_kernarg_size 272
		.amdhsa_user_sgpr_count 2
		.amdhsa_user_sgpr_dispatch_ptr 0
		.amdhsa_user_sgpr_queue_ptr 0
		.amdhsa_user_sgpr_kernarg_segment_ptr 1
		.amdhsa_user_sgpr_dispatch_id 0
		.amdhsa_user_sgpr_kernarg_preload_length 0
		.amdhsa_user_sgpr_kernarg_preload_offset 0
		.amdhsa_user_sgpr_private_segment_size 0
		.amdhsa_wavefront_size32 1
		.amdhsa_uses_dynamic_stack 0
		.amdhsa_enable_private_segment 0
		.amdhsa_system_sgpr_workgroup_id_x 1
		.amdhsa_system_sgpr_workgroup_id_y 0
		.amdhsa_system_sgpr_workgroup_id_z 0
		.amdhsa_system_sgpr_workgroup_info 0
		.amdhsa_system_vgpr_workitem_id 0
		.amdhsa_next_free_vgpr 7
		.amdhsa_next_free_sgpr 7
		.amdhsa_named_barrier_count 0
		.amdhsa_reserve_vcc 1
		.amdhsa_float_round_mode_32 0
		.amdhsa_float_round_mode_16_64 0
		.amdhsa_float_denorm_mode_32 3
		.amdhsa_float_denorm_mode_16_64 3
		.amdhsa_fp16_overflow 0
		.amdhsa_memory_ordered 1
		.amdhsa_forward_progress 1
		.amdhsa_inst_pref_size 2
		.amdhsa_round_robin_scheduling 0
		.amdhsa_exception_fp_ieee_invalid_op 0
		.amdhsa_exception_fp_denorm_src 0
		.amdhsa_exception_fp_ieee_div_zero 0
		.amdhsa_exception_fp_ieee_overflow 0
		.amdhsa_exception_fp_ieee_underflow 0
		.amdhsa_exception_fp_ieee_inexact 0
		.amdhsa_exception_int_div_zero 0
	.end_amdhsa_kernel
	.section	.text._Z17shuffle_up_kernelILj64E16custom_16alignedEvPT0_j,"axG",@progbits,_Z17shuffle_up_kernelILj64E16custom_16alignedEvPT0_j,comdat
.Lfunc_end49:
	.size	_Z17shuffle_up_kernelILj64E16custom_16alignedEvPT0_j, .Lfunc_end49-_Z17shuffle_up_kernelILj64E16custom_16alignedEvPT0_j
                                        ; -- End function
	.set _Z17shuffle_up_kernelILj64E16custom_16alignedEvPT0_j.num_vgpr, 7
	.set _Z17shuffle_up_kernelILj64E16custom_16alignedEvPT0_j.num_agpr, 0
	.set _Z17shuffle_up_kernelILj64E16custom_16alignedEvPT0_j.numbered_sgpr, 7
	.set _Z17shuffle_up_kernelILj64E16custom_16alignedEvPT0_j.num_named_barrier, 0
	.set _Z17shuffle_up_kernelILj64E16custom_16alignedEvPT0_j.private_seg_size, 0
	.set _Z17shuffle_up_kernelILj64E16custom_16alignedEvPT0_j.uses_vcc, 1
	.set _Z17shuffle_up_kernelILj64E16custom_16alignedEvPT0_j.uses_flat_scratch, 0
	.set _Z17shuffle_up_kernelILj64E16custom_16alignedEvPT0_j.has_dyn_sized_stack, 0
	.set _Z17shuffle_up_kernelILj64E16custom_16alignedEvPT0_j.has_recursion, 0
	.set _Z17shuffle_up_kernelILj64E16custom_16alignedEvPT0_j.has_indirect_call, 0
	.section	.AMDGPU.csdata,"",@progbits
; Kernel info:
; codeLenInByte = 188
; TotalNumSgprs: 9
; NumVgprs: 7
; ScratchSize: 0
; MemoryBound: 0
; FloatMode: 240
; IeeeMode: 1
; LDSByteSize: 0 bytes/workgroup (compile time only)
; SGPRBlocks: 0
; VGPRBlocks: 0
; NumSGPRsForWavesPerEU: 9
; NumVGPRsForWavesPerEU: 7
; NamedBarCnt: 0
; Occupancy: 16
; WaveLimiterHint : 0
; COMPUTE_PGM_RSRC2:SCRATCH_EN: 0
; COMPUTE_PGM_RSRC2:USER_SGPR: 2
; COMPUTE_PGM_RSRC2:TRAP_HANDLER: 0
; COMPUTE_PGM_RSRC2:TGID_X_EN: 1
; COMPUTE_PGM_RSRC2:TGID_Y_EN: 0
; COMPUTE_PGM_RSRC2:TGID_Z_EN: 0
; COMPUTE_PGM_RSRC2:TIDIG_COMP_CNT: 0
	.section	.text._Z21device_test_warp_maskILj1EEvP10TestStatus,"axG",@progbits,_Z21device_test_warp_maskILj1EEvP10TestStatus,comdat
	.protected	_Z21device_test_warp_maskILj1EEvP10TestStatus ; -- Begin function _Z21device_test_warp_maskILj1EEvP10TestStatus
	.globl	_Z21device_test_warp_maskILj1EEvP10TestStatus
	.p2align	8
	.type	_Z21device_test_warp_maskILj1EEvP10TestStatus,@function
_Z21device_test_warp_maskILj1EEvP10TestStatus: ; @_Z21device_test_warp_maskILj1EEvP10TestStatus
; %bb.0:
	v_mbcnt_lo_u32_b32 v1, -1, 0
	s_mov_b32 s2, 0
	s_mov_b32 s3, -1
	s_mov_b32 s4, exec_lo
	s_delay_alu instid0(VALU_DEP_1)
	v_lshlrev_b64_e64 v[8:9], v1, 1
	v_cmpx_ne_u32_e32 0, v1
	s_cbranch_execnz .LBB50_3
; %bb.1:
	s_or_b32 exec_lo, exec_lo, s4
	v_mov_b32_e32 v2, 0
	s_and_saveexec_b32 s4, s3
	s_cbranch_execnz .LBB50_16
.LBB50_2:
	s_or_b32 exec_lo, exec_lo, s4
	s_load_b64 s[0:1], s[0:1], 0x0
	s_wait_kmcnt 0x0
	global_store_b8 v0, v2, s[0:1]
	s_endpgm
.LBB50_3:
	v_mov_b32_e32 v2, 0
	s_mov_b32 s6, 3
	s_mov_b32 s7, -1
	s_mov_b32 s5, exec_lo
	v_cmpx_lt_u32_e32 3, v1
	s_cbranch_execz .LBB50_9
; %bb.4:
	v_dual_mov_b32 v2, v8 :: v_dual_bitop2_b32 v10, -4, v1 bitop3:0x40
	v_dual_mov_b32 v3, v9 :: v_dual_mov_b32 v4, v8
	v_dual_mov_b32 v5, v9 :: v_dual_mov_b32 v6, v8
	s_delay_alu instid0(VALU_DEP_3)
	v_dual_mov_b32 v7, v9 :: v_dual_add_nc_u32 v11, -4, v10
	s_mov_b32 s8, 2
	s_mov_b32 s10, 1
	;; [unrolled: 1-line block ×4, first 2 shown]
                                        ; implicit-def: $sgpr7
.LBB50_5:                               ; =>This Inner Loop Header: Depth=1
	s_lshl_b64 s[2:3], 1, s10
	s_lshl_b64 s[16:17], 1, s8
	v_and_b32_e32 v15, s3, v3
	v_and_b32_e32 v14, s2, v2
	;; [unrolled: 1-line block ×4, first 2 shown]
	s_lshl_b64 s[14:15], 1, s6
	s_lshl_b64 s[12:13], 1, s11
	v_cmp_ne_u64_e32 vcc_lo, 0, v[14:15]
	v_and_b32_e32 v13, s15, v7
	v_and_b32_e32 v12, s14, v6
	;; [unrolled: 1-line block ×4, first 2 shown]
	s_add_co_i32 s11, s11, 4
	s_add_co_i32 s10, s10, 4
	v_cndmask_b32_e64 v14, 0, 1, vcc_lo
	v_cmp_ne_u64_e32 vcc_lo, 0, v[16:17]
	s_add_co_i32 s8, s8, 4
	s_add_co_i32 s6, s6, 4
	s_delay_alu instid0(VALU_DEP_2) | instskip(SKIP_2) | instid1(VALU_DEP_2)
	v_lshlrev_b16 v14, 1, v14
	v_cndmask_b32_e64 v15, 0, 1, vcc_lo
	v_cmp_ne_u64_e32 vcc_lo, 0, v[12:13]
	v_lshlrev_b16 v15, 2, v15
	v_cndmask_b32_e64 v12, 0, 1, vcc_lo
	v_cmp_ne_u64_e32 vcc_lo, 0, v[18:19]
	s_delay_alu instid0(VALU_DEP_2) | instskip(SKIP_2) | instid1(VALU_DEP_3)
	v_lshlrev_b16 v12, 3, v12
	v_cndmask_b32_e64 v13, 0, 1, vcc_lo
	v_cmp_eq_u32_e32 vcc_lo, 0, v11
	v_or_b32_e32 v12, v12, v15
	v_add_nc_u32_e32 v11, -4, v11
	s_delay_alu instid0(VALU_DEP_4) | instskip(NEXT) | instid1(VALU_DEP_1)
	v_bitop3_b16 v13, v13, 3, v14 bitop3:0xc8
	v_bitop3_b16 v12, v13, 15, v12 bitop3:0xc8
	s_delay_alu instid0(VALU_DEP_1) | instskip(SKIP_2) | instid1(SALU_CYCLE_1)
	v_cmp_ne_u16_e64 s2, 0, v12
	v_cmp_eq_u16_e64 s3, 0, v12
	s_or_b32 s2, s2, vcc_lo
	s_and_b32 s2, exec_lo, s2
	s_delay_alu instid0(SALU_CYCLE_1) | instskip(SKIP_2) | instid1(SALU_CYCLE_1)
	s_or_b32 s9, s2, s9
	s_and_not1_b32 s2, s7, exec_lo
	s_and_b32 s3, s3, exec_lo
	s_or_b32 s7, s2, s3
	s_and_not1_b32 exec_lo, exec_lo, s9
	s_cbranch_execnz .LBB50_5
; %bb.6:
	s_or_b32 exec_lo, exec_lo, s9
	v_mov_b32_e32 v2, 0
	s_mov_b32 s3, 0
	s_mov_b32 s2, 0
	s_and_saveexec_b32 s6, s7
; %bb.7:
	v_cmp_ne_u32_e32 vcc_lo, v1, v10
	v_mov_b32_e32 v2, v10
	s_mov_b32 s2, exec_lo
	s_and_b32 s3, vcc_lo, exec_lo
; %bb.8:
	s_or_b32 exec_lo, exec_lo, s6
	s_delay_alu instid0(SALU_CYCLE_1)
	s_and_b32 s2, s2, exec_lo
	s_or_not1_b32 s7, s3, exec_lo
.LBB50_9:
	s_or_b32 exec_lo, exec_lo, s5
	s_and_saveexec_b32 s3, s7
	s_cbranch_execz .LBB50_15
; %bb.10:
	v_mov_b32_e32 v3, 0
	s_mov_b32 s5, 0
                                        ; implicit-def: $sgpr6
                                        ; implicit-def: $sgpr8
                                        ; implicit-def: $sgpr7
	s_delay_alu instid0(VALU_DEP_1)
	v_mov_b64_e32 v[4:5], v[2:3]
	s_branch .LBB50_12
.LBB50_11:                              ;   in Loop: Header=BB50_12 Depth=1
	s_or_b32 exec_lo, exec_lo, s9
	s_xor_b32 s9, s7, -1
	s_and_b32 s10, exec_lo, s8
	s_delay_alu instid0(SALU_CYCLE_1) | instskip(SKIP_2) | instid1(SALU_CYCLE_1)
	s_or_b32 s5, s10, s5
	s_and_not1_b32 s6, s6, exec_lo
	s_and_b32 s9, s9, exec_lo
	s_or_b32 s6, s6, s9
	s_and_not1_b32 exec_lo, exec_lo, s5
	s_cbranch_execz .LBB50_14
.LBB50_12:                              ; =>This Inner Loop Header: Depth=1
	s_delay_alu instid0(VALU_DEP_1) | instskip(SKIP_3) | instid1(VALU_DEP_1)
	v_lshrrev_b64 v[6:7], v4, v[8:9]
	s_or_b32 s7, s7, exec_lo
	s_or_b32 s8, s8, exec_lo
	s_mov_b32 s9, exec_lo
	v_and_b32_e32 v2, 1, v6
	s_delay_alu instid0(VALU_DEP_1)
	v_cmpx_eq_u64_e32 0, v[2:3]
	s_cbranch_execz .LBB50_11
; %bb.13:                               ;   in Loop: Header=BB50_12 Depth=1
	v_add_nc_u64_e32 v[4:5], 1, v[4:5]
	s_and_not1_b32 s8, s8, exec_lo
	s_and_not1_b32 s7, s7, exec_lo
	s_delay_alu instid0(VALU_DEP_1) | instskip(SKIP_1) | instid1(SALU_CYCLE_1)
	v_cmp_eq_u32_e32 vcc_lo, v1, v4
	s_and_b32 s10, vcc_lo, exec_lo
	s_or_b32 s8, s8, s10
	s_branch .LBB50_11
.LBB50_14:
	s_or_b32 exec_lo, exec_lo, s5
	s_delay_alu instid0(SALU_CYCLE_1) | instskip(SKIP_1) | instid1(SALU_CYCLE_1)
	s_and_not1_b32 s2, s2, exec_lo
	s_and_b32 s5, s6, exec_lo
	s_or_b32 s2, s2, s5
.LBB50_15:
	s_or_b32 exec_lo, exec_lo, s3
	s_delay_alu instid0(SALU_CYCLE_1)
	s_or_not1_b32 s3, s2, exec_lo
	s_or_b32 exec_lo, exec_lo, s4
	v_mov_b32_e32 v2, 0
	s_and_saveexec_b32 s4, s3
	s_cbranch_execz .LBB50_2
.LBB50_16:
	v_add_nc_u32_e32 v2, 1, v1
	s_mov_b32 s2, -1
	s_mov_b32 s5, exec_lo
	s_delay_alu instid0(VALU_DEP_1)
	v_cmpx_gt_u32_e32 64, v2
	s_cbranch_execz .LBB50_20
; %bb.17:
	v_mov_b32_e32 v3, 0
	s_mov_b32 s6, 0
                                        ; implicit-def: $sgpr7
.LBB50_18:                              ; =>This Inner Loop Header: Depth=1
	v_lshlrev_b64_e64 v[4:5], v2, 1
	v_cmp_lt_u32_e64 s2, 62, v2
	s_delay_alu instid0(VALU_DEP_3) | instskip(NEXT) | instid1(VALU_DEP_3)
	v_add_nc_u64_e32 v[2:3], 1, v[2:3]
	v_and_b32_e32 v5, v5, v9
	s_delay_alu instid0(VALU_DEP_4) | instskip(NEXT) | instid1(VALU_DEP_1)
	v_and_b32_e32 v4, v4, v8
	v_cmp_ne_u64_e32 vcc_lo, 0, v[4:5]
	v_cmp_eq_u64_e64 s3, 0, v[4:5]
	s_or_b32 s2, s2, vcc_lo
	s_delay_alu instid0(SALU_CYCLE_1) | instskip(NEXT) | instid1(SALU_CYCLE_1)
	s_and_b32 s2, exec_lo, s2
	s_or_b32 s6, s2, s6
	s_and_not1_b32 s2, s7, exec_lo
	s_and_b32 s3, s3, exec_lo
	s_delay_alu instid0(SALU_CYCLE_1)
	s_or_b32 s7, s2, s3
	s_and_not1_b32 exec_lo, exec_lo, s6
	s_cbranch_execnz .LBB50_18
; %bb.19:
	s_or_b32 exec_lo, exec_lo, s6
	s_delay_alu instid0(SALU_CYCLE_1)
	s_or_not1_b32 s2, s7, exec_lo
.LBB50_20:
	s_or_b32 exec_lo, exec_lo, s5
	v_cndmask_b32_e64 v2, 0, 1, s2
	s_or_b32 exec_lo, exec_lo, s4
	s_load_b64 s[0:1], s[0:1], 0x0
	s_wait_kmcnt 0x0
	global_store_b8 v0, v2, s[0:1]
	s_endpgm
	.section	.rodata,"a",@progbits
	.p2align	6, 0x0
	.amdhsa_kernel _Z21device_test_warp_maskILj1EEvP10TestStatus
		.amdhsa_group_segment_fixed_size 0
		.amdhsa_private_segment_fixed_size 0
		.amdhsa_kernarg_size 8
		.amdhsa_user_sgpr_count 2
		.amdhsa_user_sgpr_dispatch_ptr 0
		.amdhsa_user_sgpr_queue_ptr 0
		.amdhsa_user_sgpr_kernarg_segment_ptr 1
		.amdhsa_user_sgpr_dispatch_id 0
		.amdhsa_user_sgpr_kernarg_preload_length 0
		.amdhsa_user_sgpr_kernarg_preload_offset 0
		.amdhsa_user_sgpr_private_segment_size 0
		.amdhsa_wavefront_size32 1
		.amdhsa_uses_dynamic_stack 0
		.amdhsa_enable_private_segment 0
		.amdhsa_system_sgpr_workgroup_id_x 1
		.amdhsa_system_sgpr_workgroup_id_y 0
		.amdhsa_system_sgpr_workgroup_id_z 0
		.amdhsa_system_sgpr_workgroup_info 0
		.amdhsa_system_vgpr_workitem_id 0
		.amdhsa_next_free_vgpr 20
		.amdhsa_next_free_sgpr 18
		.amdhsa_named_barrier_count 0
		.amdhsa_reserve_vcc 1
		.amdhsa_float_round_mode_32 0
		.amdhsa_float_round_mode_16_64 0
		.amdhsa_float_denorm_mode_32 3
		.amdhsa_float_denorm_mode_16_64 3
		.amdhsa_fp16_overflow 0
		.amdhsa_memory_ordered 1
		.amdhsa_forward_progress 1
		.amdhsa_inst_pref_size 7
		.amdhsa_round_robin_scheduling 0
		.amdhsa_exception_fp_ieee_invalid_op 0
		.amdhsa_exception_fp_denorm_src 0
		.amdhsa_exception_fp_ieee_div_zero 0
		.amdhsa_exception_fp_ieee_overflow 0
		.amdhsa_exception_fp_ieee_underflow 0
		.amdhsa_exception_fp_ieee_inexact 0
		.amdhsa_exception_int_div_zero 0
	.end_amdhsa_kernel
	.section	.text._Z21device_test_warp_maskILj1EEvP10TestStatus,"axG",@progbits,_Z21device_test_warp_maskILj1EEvP10TestStatus,comdat
.Lfunc_end50:
	.size	_Z21device_test_warp_maskILj1EEvP10TestStatus, .Lfunc_end50-_Z21device_test_warp_maskILj1EEvP10TestStatus
                                        ; -- End function
	.set _Z21device_test_warp_maskILj1EEvP10TestStatus.num_vgpr, 20
	.set _Z21device_test_warp_maskILj1EEvP10TestStatus.num_agpr, 0
	.set _Z21device_test_warp_maskILj1EEvP10TestStatus.numbered_sgpr, 18
	.set _Z21device_test_warp_maskILj1EEvP10TestStatus.num_named_barrier, 0
	.set _Z21device_test_warp_maskILj1EEvP10TestStatus.private_seg_size, 0
	.set _Z21device_test_warp_maskILj1EEvP10TestStatus.uses_vcc, 1
	.set _Z21device_test_warp_maskILj1EEvP10TestStatus.uses_flat_scratch, 0
	.set _Z21device_test_warp_maskILj1EEvP10TestStatus.has_dyn_sized_stack, 0
	.set _Z21device_test_warp_maskILj1EEvP10TestStatus.has_recursion, 0
	.set _Z21device_test_warp_maskILj1EEvP10TestStatus.has_indirect_call, 0
	.section	.AMDGPU.csdata,"",@progbits
; Kernel info:
; codeLenInByte = 824
; TotalNumSgprs: 20
; NumVgprs: 20
; ScratchSize: 0
; MemoryBound: 0
; FloatMode: 240
; IeeeMode: 1
; LDSByteSize: 0 bytes/workgroup (compile time only)
; SGPRBlocks: 0
; VGPRBlocks: 1
; NumSGPRsForWavesPerEU: 20
; NumVGPRsForWavesPerEU: 20
; NamedBarCnt: 0
; Occupancy: 16
; WaveLimiterHint : 0
; COMPUTE_PGM_RSRC2:SCRATCH_EN: 0
; COMPUTE_PGM_RSRC2:USER_SGPR: 2
; COMPUTE_PGM_RSRC2:TRAP_HANDLER: 0
; COMPUTE_PGM_RSRC2:TGID_X_EN: 1
; COMPUTE_PGM_RSRC2:TGID_Y_EN: 0
; COMPUTE_PGM_RSRC2:TGID_Z_EN: 0
; COMPUTE_PGM_RSRC2:TIDIG_COMP_CNT: 0
	.section	.text._Z21device_test_warp_maskILj2EEvP10TestStatus,"axG",@progbits,_Z21device_test_warp_maskILj2EEvP10TestStatus,comdat
	.protected	_Z21device_test_warp_maskILj2EEvP10TestStatus ; -- Begin function _Z21device_test_warp_maskILj2EEvP10TestStatus
	.globl	_Z21device_test_warp_maskILj2EEvP10TestStatus
	.p2align	8
	.type	_Z21device_test_warp_maskILj2EEvP10TestStatus,@function
_Z21device_test_warp_maskILj2EEvP10TestStatus: ; @_Z21device_test_warp_maskILj2EEvP10TestStatus
; %bb.0:
	v_mbcnt_lo_u32_b32 v1, -1, 0
	s_mov_b32 s2, 0
	s_mov_b32 s3, -1
	s_mov_b32 s4, exec_lo
	s_delay_alu instid0(VALU_DEP_1) | instskip(NEXT) | instid1(VALU_DEP_1)
	v_and_b32_e32 v10, 30, v1
	v_lshlrev_b64_e64 v[8:9], v10, 3
	v_cmpx_ne_u32_e32 0, v10
	s_cbranch_execnz .LBB51_3
; %bb.1:
	s_or_b32 exec_lo, exec_lo, s4
	v_mov_b32_e32 v2, 0
	s_and_saveexec_b32 s4, s3
	s_cbranch_execnz .LBB51_16
.LBB51_2:
	s_or_b32 exec_lo, exec_lo, s4
	s_load_b64 s[0:1], s[0:1], 0x0
	s_wait_kmcnt 0x0
	global_store_b8 v0, v2, s[0:1]
	s_endpgm
.LBB51_3:
	v_mov_b32_e32 v2, 0
	s_mov_b32 s6, 3
	s_mov_b32 s7, -1
	s_mov_b32 s5, exec_lo
	v_cmpx_lt_u32_e32 3, v1
	s_cbranch_execz .LBB51_9
; %bb.4:
	v_dual_mov_b32 v2, v8 :: v_dual_bitop2_b32 v11, 28, v1 bitop3:0x40
	v_dual_mov_b32 v3, v9 :: v_dual_mov_b32 v4, v8
	v_dual_mov_b32 v5, v9 :: v_dual_mov_b32 v6, v8
	s_delay_alu instid0(VALU_DEP_3)
	v_dual_mov_b32 v7, v9 :: v_dual_add_nc_u32 v12, -4, v11
	s_mov_b32 s8, 2
	s_mov_b32 s10, 1
	;; [unrolled: 1-line block ×4, first 2 shown]
                                        ; implicit-def: $sgpr7
.LBB51_5:                               ; =>This Inner Loop Header: Depth=1
	s_lshl_b64 s[2:3], 1, s10
	s_lshl_b64 s[16:17], 1, s8
	v_and_b32_e32 v17, s3, v3
	v_and_b32_e32 v16, s2, v2
	;; [unrolled: 1-line block ×4, first 2 shown]
	s_lshl_b64 s[14:15], 1, s6
	s_lshl_b64 s[12:13], 1, s11
	v_cmp_ne_u64_e32 vcc_lo, 0, v[16:17]
	v_and_b32_e32 v15, s15, v7
	v_and_b32_e32 v14, s14, v6
	;; [unrolled: 1-line block ×4, first 2 shown]
	s_add_co_i32 s11, s11, 4
	s_add_co_i32 s10, s10, 4
	v_cndmask_b32_e64 v13, 0, 1, vcc_lo
	v_cmp_ne_u64_e32 vcc_lo, 0, v[18:19]
	s_add_co_i32 s8, s8, 4
	s_add_co_i32 s6, s6, 4
	s_delay_alu instid0(VALU_DEP_2) | instskip(SKIP_2) | instid1(VALU_DEP_2)
	v_lshlrev_b16 v13, 1, v13
	v_cndmask_b32_e64 v16, 0, 1, vcc_lo
	v_cmp_ne_u64_e32 vcc_lo, 0, v[14:15]
	v_lshlrev_b16 v16, 2, v16
	v_cndmask_b32_e64 v14, 0, 1, vcc_lo
	v_cmp_ne_u64_e32 vcc_lo, 0, v[20:21]
	s_delay_alu instid0(VALU_DEP_2) | instskip(SKIP_2) | instid1(VALU_DEP_3)
	v_lshlrev_b16 v14, 3, v14
	v_cndmask_b32_e64 v15, 0, 1, vcc_lo
	v_cmp_eq_u32_e32 vcc_lo, 0, v12
	v_or_b32_e32 v14, v14, v16
	v_add_nc_u32_e32 v12, -4, v12
	s_delay_alu instid0(VALU_DEP_4) | instskip(NEXT) | instid1(VALU_DEP_1)
	v_bitop3_b16 v13, v15, 3, v13 bitop3:0xc8
	v_bitop3_b16 v13, v13, 15, v14 bitop3:0xc8
	s_delay_alu instid0(VALU_DEP_1) | instskip(SKIP_2) | instid1(SALU_CYCLE_1)
	v_cmp_ne_u16_e64 s2, 0, v13
	v_cmp_eq_u16_e64 s3, 0, v13
	s_or_b32 s2, s2, vcc_lo
	s_and_b32 s2, exec_lo, s2
	s_delay_alu instid0(SALU_CYCLE_1) | instskip(SKIP_2) | instid1(SALU_CYCLE_1)
	s_or_b32 s9, s2, s9
	s_and_not1_b32 s2, s7, exec_lo
	s_and_b32 s3, s3, exec_lo
	s_or_b32 s7, s2, s3
	s_and_not1_b32 exec_lo, exec_lo, s9
	s_cbranch_execnz .LBB51_5
; %bb.6:
	s_or_b32 exec_lo, exec_lo, s9
	v_mov_b32_e32 v2, 0
	s_mov_b32 s3, 0
	s_mov_b32 s2, 0
	s_and_saveexec_b32 s6, s7
; %bb.7:
	v_cmp_ne_u32_e32 vcc_lo, v10, v11
	v_mov_b32_e32 v2, v11
	s_mov_b32 s2, exec_lo
	s_and_b32 s3, vcc_lo, exec_lo
; %bb.8:
	s_or_b32 exec_lo, exec_lo, s6
	s_delay_alu instid0(SALU_CYCLE_1)
	s_and_b32 s2, s2, exec_lo
	s_or_not1_b32 s7, s3, exec_lo
.LBB51_9:
	s_or_b32 exec_lo, exec_lo, s5
	s_and_saveexec_b32 s3, s7
	s_cbranch_execz .LBB51_15
; %bb.10:
	v_mov_b32_e32 v3, 0
	s_mov_b32 s5, 0
                                        ; implicit-def: $sgpr6
                                        ; implicit-def: $sgpr8
                                        ; implicit-def: $sgpr7
	s_delay_alu instid0(VALU_DEP_1)
	v_mov_b64_e32 v[4:5], v[2:3]
	s_branch .LBB51_12
.LBB51_11:                              ;   in Loop: Header=BB51_12 Depth=1
	s_or_b32 exec_lo, exec_lo, s9
	s_xor_b32 s9, s7, -1
	s_and_b32 s10, exec_lo, s8
	s_delay_alu instid0(SALU_CYCLE_1) | instskip(SKIP_2) | instid1(SALU_CYCLE_1)
	s_or_b32 s5, s10, s5
	s_and_not1_b32 s6, s6, exec_lo
	s_and_b32 s9, s9, exec_lo
	s_or_b32 s6, s6, s9
	s_and_not1_b32 exec_lo, exec_lo, s5
	s_cbranch_execz .LBB51_14
.LBB51_12:                              ; =>This Inner Loop Header: Depth=1
	s_delay_alu instid0(VALU_DEP_1) | instskip(SKIP_3) | instid1(VALU_DEP_1)
	v_lshrrev_b64 v[6:7], v4, v[8:9]
	s_or_b32 s7, s7, exec_lo
	s_or_b32 s8, s8, exec_lo
	s_mov_b32 s9, exec_lo
	v_and_b32_e32 v2, 1, v6
	s_delay_alu instid0(VALU_DEP_1)
	v_cmpx_eq_u64_e32 0, v[2:3]
	s_cbranch_execz .LBB51_11
; %bb.13:                               ;   in Loop: Header=BB51_12 Depth=1
	v_add_nc_u64_e32 v[4:5], 1, v[4:5]
	s_and_not1_b32 s8, s8, exec_lo
	s_and_not1_b32 s7, s7, exec_lo
	s_delay_alu instid0(VALU_DEP_1) | instskip(SKIP_1) | instid1(SALU_CYCLE_1)
	v_cmp_eq_u32_e32 vcc_lo, v10, v4
	s_and_b32 s10, vcc_lo, exec_lo
	s_or_b32 s8, s8, s10
	s_branch .LBB51_11
.LBB51_14:
	s_or_b32 exec_lo, exec_lo, s5
	s_delay_alu instid0(SALU_CYCLE_1) | instskip(SKIP_1) | instid1(SALU_CYCLE_1)
	s_and_not1_b32 s2, s2, exec_lo
	s_and_b32 s5, s6, exec_lo
	s_or_b32 s2, s2, s5
.LBB51_15:
	s_or_b32 exec_lo, exec_lo, s3
	s_delay_alu instid0(SALU_CYCLE_1)
	s_or_not1_b32 s3, s2, exec_lo
	s_or_b32 exec_lo, exec_lo, s4
	v_mov_b32_e32 v2, 0
	s_and_saveexec_b32 s4, s3
	s_cbranch_execz .LBB51_2
.LBB51_16:
	v_cmp_lt_u32_e64 s2, -3, v1
	s_mov_b32 s3, exec_lo
	v_cmpx_gt_u32_e32 -2, v1
; %bb.17:
	v_or_b32_e32 v1, 1, v1
	s_and_not1_b32 s2, s2, exec_lo
	s_delay_alu instid0(VALU_DEP_1) | instskip(NEXT) | instid1(VALU_DEP_1)
	v_lshrrev_b32_e32 v1, v1, v8
	v_and_b32_e32 v1, 1, v1
	s_delay_alu instid0(VALU_DEP_1) | instskip(SKIP_1) | instid1(SALU_CYCLE_1)
	v_cmp_eq_u32_e32 vcc_lo, 1, v1
	s_and_b32 s5, vcc_lo, exec_lo
	s_or_b32 s2, s2, s5
; %bb.18:
	s_or_b32 exec_lo, exec_lo, s3
	v_mov_b32_e32 v2, 0
	s_and_saveexec_b32 s5, s2
	s_cbranch_execz .LBB51_24
; %bb.19:
	v_add_nc_u32_e32 v2, 2, v10
	s_mov_b32 s2, -1
	s_mov_b32 s6, exec_lo
	s_delay_alu instid0(VALU_DEP_1)
	v_cmpx_gt_u32_e32 64, v2
	s_cbranch_execz .LBB51_23
; %bb.20:
	v_mov_b32_e32 v3, 0
	s_mov_b32 s7, 0
                                        ; implicit-def: $sgpr8
.LBB51_21:                              ; =>This Inner Loop Header: Depth=1
	v_lshlrev_b64_e64 v[4:5], v2, 1
	v_cmp_lt_u32_e64 s2, 62, v2
	s_delay_alu instid0(VALU_DEP_3) | instskip(NEXT) | instid1(VALU_DEP_3)
	v_add_nc_u64_e32 v[2:3], 1, v[2:3]
	v_and_b32_e32 v5, v5, v9
	s_delay_alu instid0(VALU_DEP_4) | instskip(NEXT) | instid1(VALU_DEP_1)
	v_and_b32_e32 v4, v4, v8
	v_cmp_ne_u64_e32 vcc_lo, 0, v[4:5]
	v_cmp_eq_u64_e64 s3, 0, v[4:5]
	s_or_b32 s2, s2, vcc_lo
	s_delay_alu instid0(SALU_CYCLE_1) | instskip(NEXT) | instid1(SALU_CYCLE_1)
	s_and_b32 s2, exec_lo, s2
	s_or_b32 s7, s2, s7
	s_and_not1_b32 s2, s8, exec_lo
	s_and_b32 s3, s3, exec_lo
	s_delay_alu instid0(SALU_CYCLE_1)
	s_or_b32 s8, s2, s3
	s_and_not1_b32 exec_lo, exec_lo, s7
	s_cbranch_execnz .LBB51_21
; %bb.22:
	s_or_b32 exec_lo, exec_lo, s7
	s_delay_alu instid0(SALU_CYCLE_1)
	s_or_not1_b32 s2, s8, exec_lo
.LBB51_23:
	s_or_b32 exec_lo, exec_lo, s6
	v_cndmask_b32_e64 v2, 0, 1, s2
.LBB51_24:
	s_or_b32 exec_lo, exec_lo, s5
	s_delay_alu instid0(SALU_CYCLE_1)
	s_or_b32 exec_lo, exec_lo, s4
	s_load_b64 s[0:1], s[0:1], 0x0
	s_wait_kmcnt 0x0
	global_store_b8 v0, v2, s[0:1]
	s_endpgm
	.section	.rodata,"a",@progbits
	.p2align	6, 0x0
	.amdhsa_kernel _Z21device_test_warp_maskILj2EEvP10TestStatus
		.amdhsa_group_segment_fixed_size 0
		.amdhsa_private_segment_fixed_size 0
		.amdhsa_kernarg_size 8
		.amdhsa_user_sgpr_count 2
		.amdhsa_user_sgpr_dispatch_ptr 0
		.amdhsa_user_sgpr_queue_ptr 0
		.amdhsa_user_sgpr_kernarg_segment_ptr 1
		.amdhsa_user_sgpr_dispatch_id 0
		.amdhsa_user_sgpr_kernarg_preload_length 0
		.amdhsa_user_sgpr_kernarg_preload_offset 0
		.amdhsa_user_sgpr_private_segment_size 0
		.amdhsa_wavefront_size32 1
		.amdhsa_uses_dynamic_stack 0
		.amdhsa_enable_private_segment 0
		.amdhsa_system_sgpr_workgroup_id_x 1
		.amdhsa_system_sgpr_workgroup_id_y 0
		.amdhsa_system_sgpr_workgroup_id_z 0
		.amdhsa_system_sgpr_workgroup_info 0
		.amdhsa_system_vgpr_workitem_id 0
		.amdhsa_next_free_vgpr 22
		.amdhsa_next_free_sgpr 18
		.amdhsa_named_barrier_count 0
		.amdhsa_reserve_vcc 1
		.amdhsa_float_round_mode_32 0
		.amdhsa_float_round_mode_16_64 0
		.amdhsa_float_denorm_mode_32 3
		.amdhsa_float_denorm_mode_16_64 3
		.amdhsa_fp16_overflow 0
		.amdhsa_memory_ordered 1
		.amdhsa_forward_progress 1
		.amdhsa_inst_pref_size 8
		.amdhsa_round_robin_scheduling 0
		.amdhsa_exception_fp_ieee_invalid_op 0
		.amdhsa_exception_fp_denorm_src 0
		.amdhsa_exception_fp_ieee_div_zero 0
		.amdhsa_exception_fp_ieee_overflow 0
		.amdhsa_exception_fp_ieee_underflow 0
		.amdhsa_exception_fp_ieee_inexact 0
		.amdhsa_exception_int_div_zero 0
	.end_amdhsa_kernel
	.section	.text._Z21device_test_warp_maskILj2EEvP10TestStatus,"axG",@progbits,_Z21device_test_warp_maskILj2EEvP10TestStatus,comdat
.Lfunc_end51:
	.size	_Z21device_test_warp_maskILj2EEvP10TestStatus, .Lfunc_end51-_Z21device_test_warp_maskILj2EEvP10TestStatus
                                        ; -- End function
	.set _Z21device_test_warp_maskILj2EEvP10TestStatus.num_vgpr, 22
	.set _Z21device_test_warp_maskILj2EEvP10TestStatus.num_agpr, 0
	.set _Z21device_test_warp_maskILj2EEvP10TestStatus.numbered_sgpr, 18
	.set _Z21device_test_warp_maskILj2EEvP10TestStatus.num_named_barrier, 0
	.set _Z21device_test_warp_maskILj2EEvP10TestStatus.private_seg_size, 0
	.set _Z21device_test_warp_maskILj2EEvP10TestStatus.uses_vcc, 1
	.set _Z21device_test_warp_maskILj2EEvP10TestStatus.uses_flat_scratch, 0
	.set _Z21device_test_warp_maskILj2EEvP10TestStatus.has_dyn_sized_stack, 0
	.set _Z21device_test_warp_maskILj2EEvP10TestStatus.has_recursion, 0
	.set _Z21device_test_warp_maskILj2EEvP10TestStatus.has_indirect_call, 0
	.section	.AMDGPU.csdata,"",@progbits
; Kernel info:
; codeLenInByte = 900
; TotalNumSgprs: 20
; NumVgprs: 22
; ScratchSize: 0
; MemoryBound: 0
; FloatMode: 240
; IeeeMode: 1
; LDSByteSize: 0 bytes/workgroup (compile time only)
; SGPRBlocks: 0
; VGPRBlocks: 1
; NumSGPRsForWavesPerEU: 20
; NumVGPRsForWavesPerEU: 22
; NamedBarCnt: 0
; Occupancy: 16
; WaveLimiterHint : 0
; COMPUTE_PGM_RSRC2:SCRATCH_EN: 0
; COMPUTE_PGM_RSRC2:USER_SGPR: 2
; COMPUTE_PGM_RSRC2:TRAP_HANDLER: 0
; COMPUTE_PGM_RSRC2:TGID_X_EN: 1
; COMPUTE_PGM_RSRC2:TGID_Y_EN: 0
; COMPUTE_PGM_RSRC2:TGID_Z_EN: 0
; COMPUTE_PGM_RSRC2:TIDIG_COMP_CNT: 0
	.section	.text._Z21device_test_warp_maskILj3EEvP10TestStatus,"axG",@progbits,_Z21device_test_warp_maskILj3EEvP10TestStatus,comdat
	.protected	_Z21device_test_warp_maskILj3EEvP10TestStatus ; -- Begin function _Z21device_test_warp_maskILj3EEvP10TestStatus
	.globl	_Z21device_test_warp_maskILj3EEvP10TestStatus
	.p2align	8
	.type	_Z21device_test_warp_maskILj3EEvP10TestStatus,@function
_Z21device_test_warp_maskILj3EEvP10TestStatus: ; @_Z21device_test_warp_maskILj3EEvP10TestStatus
; %bb.0:
	s_mov_b64 s[2:3], 3
.LBB52_1:                               ; =>This Inner Loop Header: Depth=1
	s_delay_alu instid0(SALU_CYCLE_1) | instskip(NEXT) | instid1(SALU_CYCLE_1)
	s_lshl_b64 s[4:5], 1, s2
	s_and_b64 s[4:5], s[4:5], 6
	s_delay_alu instid0(SALU_CYCLE_1) | instskip(SKIP_4) | instid1(SALU_CYCLE_1)
	s_cmp_eq_u64 s[4:5], 0
	s_cselect_b32 s4, -1, 0
	s_cmp_lg_u32 s2, 63
	s_add_nc_u64 s[2:3], s[2:3], 1
	s_cselect_b32 s5, -1, 0
	s_and_b32 s5, s4, s5
	s_delay_alu instid0(SALU_CYCLE_1)
	s_and_b32 vcc_lo, exec_lo, s5
	s_cbranch_vccnz .LBB52_1
; %bb.2:
	s_load_b64 s[0:1], s[0:1], 0x0
	v_cndmask_b32_e64 v1, 0, 1, s4
	s_wait_kmcnt 0x0
	global_store_b8 v0, v1, s[0:1]
	s_endpgm
	.section	.rodata,"a",@progbits
	.p2align	6, 0x0
	.amdhsa_kernel _Z21device_test_warp_maskILj3EEvP10TestStatus
		.amdhsa_group_segment_fixed_size 0
		.amdhsa_private_segment_fixed_size 0
		.amdhsa_kernarg_size 8
		.amdhsa_user_sgpr_count 2
		.amdhsa_user_sgpr_dispatch_ptr 0
		.amdhsa_user_sgpr_queue_ptr 0
		.amdhsa_user_sgpr_kernarg_segment_ptr 1
		.amdhsa_user_sgpr_dispatch_id 0
		.amdhsa_user_sgpr_kernarg_preload_length 0
		.amdhsa_user_sgpr_kernarg_preload_offset 0
		.amdhsa_user_sgpr_private_segment_size 0
		.amdhsa_wavefront_size32 1
		.amdhsa_uses_dynamic_stack 0
		.amdhsa_enable_private_segment 0
		.amdhsa_system_sgpr_workgroup_id_x 1
		.amdhsa_system_sgpr_workgroup_id_y 0
		.amdhsa_system_sgpr_workgroup_id_z 0
		.amdhsa_system_sgpr_workgroup_info 0
		.amdhsa_system_vgpr_workitem_id 0
		.amdhsa_next_free_vgpr 2
		.amdhsa_next_free_sgpr 6
		.amdhsa_named_barrier_count 0
		.amdhsa_reserve_vcc 1
		.amdhsa_float_round_mode_32 0
		.amdhsa_float_round_mode_16_64 0
		.amdhsa_float_denorm_mode_32 3
		.amdhsa_float_denorm_mode_16_64 3
		.amdhsa_fp16_overflow 0
		.amdhsa_memory_ordered 1
		.amdhsa_forward_progress 1
		.amdhsa_inst_pref_size 1
		.amdhsa_round_robin_scheduling 0
		.amdhsa_exception_fp_ieee_invalid_op 0
		.amdhsa_exception_fp_denorm_src 0
		.amdhsa_exception_fp_ieee_div_zero 0
		.amdhsa_exception_fp_ieee_overflow 0
		.amdhsa_exception_fp_ieee_underflow 0
		.amdhsa_exception_fp_ieee_inexact 0
		.amdhsa_exception_int_div_zero 0
	.end_amdhsa_kernel
	.section	.text._Z21device_test_warp_maskILj3EEvP10TestStatus,"axG",@progbits,_Z21device_test_warp_maskILj3EEvP10TestStatus,comdat
.Lfunc_end52:
	.size	_Z21device_test_warp_maskILj3EEvP10TestStatus, .Lfunc_end52-_Z21device_test_warp_maskILj3EEvP10TestStatus
                                        ; -- End function
	.set _Z21device_test_warp_maskILj3EEvP10TestStatus.num_vgpr, 2
	.set _Z21device_test_warp_maskILj3EEvP10TestStatus.num_agpr, 0
	.set _Z21device_test_warp_maskILj3EEvP10TestStatus.numbered_sgpr, 6
	.set _Z21device_test_warp_maskILj3EEvP10TestStatus.num_named_barrier, 0
	.set _Z21device_test_warp_maskILj3EEvP10TestStatus.private_seg_size, 0
	.set _Z21device_test_warp_maskILj3EEvP10TestStatus.uses_vcc, 1
	.set _Z21device_test_warp_maskILj3EEvP10TestStatus.uses_flat_scratch, 0
	.set _Z21device_test_warp_maskILj3EEvP10TestStatus.has_dyn_sized_stack, 0
	.set _Z21device_test_warp_maskILj3EEvP10TestStatus.has_recursion, 0
	.set _Z21device_test_warp_maskILj3EEvP10TestStatus.has_indirect_call, 0
	.section	.AMDGPU.csdata,"",@progbits
; Kernel info:
; codeLenInByte = 92
; TotalNumSgprs: 8
; NumVgprs: 2
; ScratchSize: 0
; MemoryBound: 0
; FloatMode: 240
; IeeeMode: 1
; LDSByteSize: 0 bytes/workgroup (compile time only)
; SGPRBlocks: 0
; VGPRBlocks: 0
; NumSGPRsForWavesPerEU: 8
; NumVGPRsForWavesPerEU: 2
; NamedBarCnt: 0
; Occupancy: 16
; WaveLimiterHint : 0
; COMPUTE_PGM_RSRC2:SCRATCH_EN: 0
; COMPUTE_PGM_RSRC2:USER_SGPR: 2
; COMPUTE_PGM_RSRC2:TRAP_HANDLER: 0
; COMPUTE_PGM_RSRC2:TGID_X_EN: 1
; COMPUTE_PGM_RSRC2:TGID_Y_EN: 0
; COMPUTE_PGM_RSRC2:TGID_Z_EN: 0
; COMPUTE_PGM_RSRC2:TIDIG_COMP_CNT: 0
	.section	.text._Z21device_test_warp_maskILj4EEvP10TestStatus,"axG",@progbits,_Z21device_test_warp_maskILj4EEvP10TestStatus,comdat
	.protected	_Z21device_test_warp_maskILj4EEvP10TestStatus ; -- Begin function _Z21device_test_warp_maskILj4EEvP10TestStatus
	.globl	_Z21device_test_warp_maskILj4EEvP10TestStatus
	.p2align	8
	.type	_Z21device_test_warp_maskILj4EEvP10TestStatus,@function
_Z21device_test_warp_maskILj4EEvP10TestStatus: ; @_Z21device_test_warp_maskILj4EEvP10TestStatus
; %bb.0:
	v_mbcnt_lo_u32_b32 v1, -1, 0
	s_mov_b32 s7, 0
	s_mov_b32 s2, -1
	s_mov_b32 s4, exec_lo
	s_delay_alu instid0(VALU_DEP_1) | instskip(NEXT) | instid1(VALU_DEP_1)
	v_and_b32_e32 v10, 28, v1
	v_lshlrev_b64_e64 v[8:9], v10, 15
	v_cmpx_ne_u32_e32 0, v10
	s_cbranch_execnz .LBB53_3
; %bb.1:
	s_or_b32 exec_lo, exec_lo, s4
	v_mov_b32_e32 v2, 0
	s_and_saveexec_b32 s4, s2
	s_cbranch_execnz .LBB53_14
.LBB53_2:
	s_or_b32 exec_lo, exec_lo, s4
	s_load_b64 s[0:1], s[0:1], 0x0
	s_wait_kmcnt 0x0
	global_store_b8 v0, v2, s[0:1]
	s_endpgm
.LBB53_3:
	s_mov_b32 s6, 3
	s_mov_b32 s2, exec_lo
	v_cmpx_lt_u32_e32 3, v1
	s_xor_b32 s5, exec_lo, s2
	s_cbranch_execz .LBB53_7
; %bb.4:
	v_dual_mov_b32 v2, v8 :: v_dual_mov_b32 v3, v9
	v_dual_mov_b32 v4, v8 :: v_dual_mov_b32 v5, v9
	;; [unrolled: 1-line block ×3, first 2 shown]
	v_add_nc_u32_e32 v11, -4, v10
	s_mov_b32 s7, 2
	s_mov_b32 s9, 1
	;; [unrolled: 1-line block ×4, first 2 shown]
                                        ; implicit-def: $sgpr11
.LBB53_5:                               ; =>This Inner Loop Header: Depth=1
	s_lshl_b64 s[2:3], 1, s9
	s_lshl_b64 s[16:17], 1, s7
	v_and_b32_e32 v15, s3, v3
	v_and_b32_e32 v14, s2, v2
	;; [unrolled: 1-line block ×4, first 2 shown]
	s_lshl_b64 s[14:15], 1, s6
	s_lshl_b64 s[12:13], 1, s10
	v_cmp_ne_u64_e32 vcc_lo, 0, v[14:15]
	v_and_b32_e32 v13, s15, v7
	v_and_b32_e32 v12, s14, v6
	;; [unrolled: 1-line block ×4, first 2 shown]
	s_add_co_i32 s10, s10, 4
	s_add_co_i32 s9, s9, 4
	v_cndmask_b32_e64 v14, 0, 1, vcc_lo
	v_cmp_ne_u64_e32 vcc_lo, 0, v[16:17]
	s_add_co_i32 s7, s7, 4
	s_add_co_i32 s6, s6, 4
	s_delay_alu instid0(VALU_DEP_2) | instskip(SKIP_2) | instid1(VALU_DEP_2)
	v_lshlrev_b16 v14, 1, v14
	v_cndmask_b32_e64 v15, 0, 1, vcc_lo
	v_cmp_ne_u64_e32 vcc_lo, 0, v[12:13]
	v_lshlrev_b16 v15, 2, v15
	v_cndmask_b32_e64 v12, 0, 1, vcc_lo
	v_cmp_ne_u64_e32 vcc_lo, 0, v[18:19]
	s_delay_alu instid0(VALU_DEP_2) | instskip(SKIP_2) | instid1(VALU_DEP_3)
	v_lshlrev_b16 v12, 3, v12
	v_cndmask_b32_e64 v13, 0, 1, vcc_lo
	v_cmp_eq_u32_e32 vcc_lo, 0, v11
	v_or_b32_e32 v12, v12, v15
	v_add_nc_u32_e32 v11, -4, v11
	s_delay_alu instid0(VALU_DEP_4) | instskip(NEXT) | instid1(VALU_DEP_1)
	v_bitop3_b16 v13, v13, 3, v14 bitop3:0xc8
	v_bitop3_b16 v12, v13, 15, v12 bitop3:0xc8
	s_delay_alu instid0(VALU_DEP_1) | instskip(SKIP_2) | instid1(SALU_CYCLE_1)
	v_cmp_ne_u16_e64 s2, 0, v12
	v_cmp_eq_u16_e64 s3, 0, v12
	s_or_b32 s2, s2, vcc_lo
	s_and_b32 s2, exec_lo, s2
	s_delay_alu instid0(SALU_CYCLE_1) | instskip(SKIP_2) | instid1(SALU_CYCLE_1)
	s_or_b32 s8, s2, s8
	s_and_not1_b32 s2, s11, exec_lo
	s_and_b32 s3, s3, exec_lo
	s_or_b32 s11, s2, s3
	s_and_not1_b32 exec_lo, exec_lo, s8
	s_cbranch_execnz .LBB53_5
; %bb.6:
	s_or_b32 exec_lo, exec_lo, s8
	s_delay_alu instid0(SALU_CYCLE_1)
	s_and_b32 s7, s11, exec_lo
.LBB53_7:
	s_and_not1_saveexec_b32 s5, s5
	s_cbranch_execz .LBB53_13
; %bb.8:
	v_mov_b32_e32 v3, 0
	s_mov_b64 s[2:3], 0
	s_mov_b32 s6, 0
                                        ; implicit-def: $sgpr8
                                        ; implicit-def: $sgpr10
                                        ; implicit-def: $sgpr9
	s_branch .LBB53_10
.LBB53_9:                               ;   in Loop: Header=BB53_10 Depth=1
	s_or_b32 exec_lo, exec_lo, s11
	s_xor_b32 s11, s9, -1
	s_and_b32 s12, exec_lo, s10
	s_delay_alu instid0(SALU_CYCLE_1) | instskip(SKIP_2) | instid1(SALU_CYCLE_1)
	s_or_b32 s6, s12, s6
	s_and_not1_b32 s8, s8, exec_lo
	s_and_b32 s11, s11, exec_lo
	s_or_b32 s8, s8, s11
	s_and_not1_b32 exec_lo, exec_lo, s6
	s_cbranch_execz .LBB53_12
.LBB53_10:                              ; =>This Inner Loop Header: Depth=1
	v_lshrrev_b64 v[4:5], s2, v[8:9]
	s_or_b32 s9, s9, exec_lo
	s_or_b32 s10, s10, exec_lo
	s_mov_b32 s11, exec_lo
	s_delay_alu instid0(VALU_DEP_1) | instskip(NEXT) | instid1(VALU_DEP_1)
	v_and_b32_e32 v2, 1, v4
	v_cmpx_eq_u64_e32 0, v[2:3]
	s_cbranch_execz .LBB53_9
; %bb.11:                               ;   in Loop: Header=BB53_10 Depth=1
	s_add_nc_u64 s[2:3], s[2:3], 1
	s_and_not1_b32 s10, s10, exec_lo
	v_cmp_eq_u32_e32 vcc_lo, s2, v10
	s_and_not1_b32 s9, s9, exec_lo
	s_and_b32 s12, vcc_lo, exec_lo
	s_delay_alu instid0(SALU_CYCLE_1)
	s_or_b32 s10, s10, s12
	s_branch .LBB53_9
.LBB53_12:
	s_or_b32 exec_lo, exec_lo, s6
	s_delay_alu instid0(SALU_CYCLE_1) | instskip(SKIP_1) | instid1(SALU_CYCLE_1)
	s_and_not1_b32 s2, s7, exec_lo
	s_and_b32 s3, s8, exec_lo
	s_or_b32 s7, s2, s3
.LBB53_13:
	s_or_b32 exec_lo, exec_lo, s5
	s_delay_alu instid0(SALU_CYCLE_1)
	s_or_not1_b32 s2, s7, exec_lo
	s_or_b32 exec_lo, exec_lo, s4
	v_mov_b32_e32 v2, 0
	s_and_saveexec_b32 s4, s2
	s_cbranch_execz .LBB53_2
.LBB53_14:
	s_mov_b32 s3, -1
	s_mov_b32 s2, exec_lo
	v_cmpx_gt_u32_e32 -4, v1
	s_cbranch_execz .LBB53_20
; %bb.15:
	v_or_b32_e32 v2, 1, v10
	s_mov_b32 s5, 0
	s_mov_b32 s3, exec_lo
	s_delay_alu instid0(VALU_DEP_1) | instskip(NEXT) | instid1(VALU_DEP_1)
	v_lshrrev_b32_e32 v2, v2, v8
	v_and_b32_e32 v2, 1, v2
	s_delay_alu instid0(VALU_DEP_1)
	v_cmpx_eq_u32_e32 1, v2
	s_cbranch_execz .LBB53_19
; %bb.16:
	v_or_b32_e32 v2, 2, v10
	s_mov_b32 s6, 0
	s_mov_b32 s5, exec_lo
	s_delay_alu instid0(VALU_DEP_1) | instskip(NEXT) | instid1(VALU_DEP_1)
	v_lshrrev_b32_e32 v2, v2, v8
	v_and_b32_e32 v2, 1, v2
	s_delay_alu instid0(VALU_DEP_1)
	v_cmpx_eq_u32_e32 1, v2
; %bb.17:
	v_or_b32_e32 v1, 3, v1
	s_delay_alu instid0(VALU_DEP_1) | instskip(NEXT) | instid1(VALU_DEP_1)
	v_lshrrev_b32_e32 v1, v1, v8
	v_and_b32_e32 v1, 1, v1
	s_delay_alu instid0(VALU_DEP_1)
	v_cmp_eq_u32_e32 vcc_lo, 1, v1
	s_and_b32 s6, vcc_lo, exec_lo
; %bb.18:
	s_or_b32 exec_lo, exec_lo, s5
	s_delay_alu instid0(SALU_CYCLE_1)
	s_and_b32 s5, s6, exec_lo
.LBB53_19:
	s_or_b32 exec_lo, exec_lo, s3
	s_delay_alu instid0(SALU_CYCLE_1)
	s_or_not1_b32 s3, s5, exec_lo
.LBB53_20:
	s_or_b32 exec_lo, exec_lo, s2
	v_mov_b32_e32 v2, 0
	s_and_saveexec_b32 s5, s3
	s_cbranch_execz .LBB53_26
; %bb.21:
	v_add_nc_u32_e32 v2, 4, v10
	s_mov_b32 s2, -1
	s_mov_b32 s6, exec_lo
	s_delay_alu instid0(VALU_DEP_1)
	v_cmpx_gt_u32_e32 64, v2
	s_cbranch_execz .LBB53_25
; %bb.22:
	v_mov_b32_e32 v3, 0
	s_mov_b32 s7, 0
                                        ; implicit-def: $sgpr8
.LBB53_23:                              ; =>This Inner Loop Header: Depth=1
	v_lshlrev_b64_e64 v[4:5], v2, 1
	v_cmp_lt_u32_e64 s2, 62, v2
	s_delay_alu instid0(VALU_DEP_3) | instskip(NEXT) | instid1(VALU_DEP_3)
	v_add_nc_u64_e32 v[2:3], 1, v[2:3]
	v_and_b32_e32 v5, v5, v9
	s_delay_alu instid0(VALU_DEP_4) | instskip(NEXT) | instid1(VALU_DEP_1)
	v_and_b32_e32 v4, v4, v8
	v_cmp_ne_u64_e32 vcc_lo, 0, v[4:5]
	v_cmp_eq_u64_e64 s3, 0, v[4:5]
	s_or_b32 s2, s2, vcc_lo
	s_delay_alu instid0(SALU_CYCLE_1) | instskip(NEXT) | instid1(SALU_CYCLE_1)
	s_and_b32 s2, exec_lo, s2
	s_or_b32 s7, s2, s7
	s_and_not1_b32 s2, s8, exec_lo
	s_and_b32 s3, s3, exec_lo
	s_delay_alu instid0(SALU_CYCLE_1)
	s_or_b32 s8, s2, s3
	s_and_not1_b32 exec_lo, exec_lo, s7
	s_cbranch_execnz .LBB53_23
; %bb.24:
	s_or_b32 exec_lo, exec_lo, s7
	s_delay_alu instid0(SALU_CYCLE_1)
	s_or_not1_b32 s2, s8, exec_lo
.LBB53_25:
	s_or_b32 exec_lo, exec_lo, s6
	v_cndmask_b32_e64 v2, 0, 1, s2
.LBB53_26:
	s_or_b32 exec_lo, exec_lo, s5
	s_delay_alu instid0(SALU_CYCLE_1)
	s_or_b32 exec_lo, exec_lo, s4
	s_load_b64 s[0:1], s[0:1], 0x0
	s_wait_kmcnt 0x0
	global_store_b8 v0, v2, s[0:1]
	s_endpgm
	.section	.rodata,"a",@progbits
	.p2align	6, 0x0
	.amdhsa_kernel _Z21device_test_warp_maskILj4EEvP10TestStatus
		.amdhsa_group_segment_fixed_size 0
		.amdhsa_private_segment_fixed_size 0
		.amdhsa_kernarg_size 8
		.amdhsa_user_sgpr_count 2
		.amdhsa_user_sgpr_dispatch_ptr 0
		.amdhsa_user_sgpr_queue_ptr 0
		.amdhsa_user_sgpr_kernarg_segment_ptr 1
		.amdhsa_user_sgpr_dispatch_id 0
		.amdhsa_user_sgpr_kernarg_preload_length 0
		.amdhsa_user_sgpr_kernarg_preload_offset 0
		.amdhsa_user_sgpr_private_segment_size 0
		.amdhsa_wavefront_size32 1
		.amdhsa_uses_dynamic_stack 0
		.amdhsa_enable_private_segment 0
		.amdhsa_system_sgpr_workgroup_id_x 1
		.amdhsa_system_sgpr_workgroup_id_y 0
		.amdhsa_system_sgpr_workgroup_id_z 0
		.amdhsa_system_sgpr_workgroup_info 0
		.amdhsa_system_vgpr_workitem_id 0
		.amdhsa_next_free_vgpr 20
		.amdhsa_next_free_sgpr 18
		.amdhsa_named_barrier_count 0
		.amdhsa_reserve_vcc 1
		.amdhsa_float_round_mode_32 0
		.amdhsa_float_round_mode_16_64 0
		.amdhsa_float_denorm_mode_32 3
		.amdhsa_float_denorm_mode_16_64 3
		.amdhsa_fp16_overflow 0
		.amdhsa_memory_ordered 1
		.amdhsa_forward_progress 1
		.amdhsa_inst_pref_size 8
		.amdhsa_round_robin_scheduling 0
		.amdhsa_exception_fp_ieee_invalid_op 0
		.amdhsa_exception_fp_denorm_src 0
		.amdhsa_exception_fp_ieee_div_zero 0
		.amdhsa_exception_fp_ieee_overflow 0
		.amdhsa_exception_fp_ieee_underflow 0
		.amdhsa_exception_fp_ieee_inexact 0
		.amdhsa_exception_int_div_zero 0
	.end_amdhsa_kernel
	.section	.text._Z21device_test_warp_maskILj4EEvP10TestStatus,"axG",@progbits,_Z21device_test_warp_maskILj4EEvP10TestStatus,comdat
.Lfunc_end53:
	.size	_Z21device_test_warp_maskILj4EEvP10TestStatus, .Lfunc_end53-_Z21device_test_warp_maskILj4EEvP10TestStatus
                                        ; -- End function
	.set _Z21device_test_warp_maskILj4EEvP10TestStatus.num_vgpr, 20
	.set _Z21device_test_warp_maskILj4EEvP10TestStatus.num_agpr, 0
	.set _Z21device_test_warp_maskILj4EEvP10TestStatus.numbered_sgpr, 18
	.set _Z21device_test_warp_maskILj4EEvP10TestStatus.num_named_barrier, 0
	.set _Z21device_test_warp_maskILj4EEvP10TestStatus.private_seg_size, 0
	.set _Z21device_test_warp_maskILj4EEvP10TestStatus.uses_vcc, 1
	.set _Z21device_test_warp_maskILj4EEvP10TestStatus.uses_flat_scratch, 0
	.set _Z21device_test_warp_maskILj4EEvP10TestStatus.has_dyn_sized_stack, 0
	.set _Z21device_test_warp_maskILj4EEvP10TestStatus.has_recursion, 0
	.set _Z21device_test_warp_maskILj4EEvP10TestStatus.has_indirect_call, 0
	.section	.AMDGPU.csdata,"",@progbits
; Kernel info:
; codeLenInByte = 916
; TotalNumSgprs: 20
; NumVgprs: 20
; ScratchSize: 0
; MemoryBound: 0
; FloatMode: 240
; IeeeMode: 1
; LDSByteSize: 0 bytes/workgroup (compile time only)
; SGPRBlocks: 0
; VGPRBlocks: 1
; NumSGPRsForWavesPerEU: 20
; NumVGPRsForWavesPerEU: 20
; NamedBarCnt: 0
; Occupancy: 16
; WaveLimiterHint : 0
; COMPUTE_PGM_RSRC2:SCRATCH_EN: 0
; COMPUTE_PGM_RSRC2:USER_SGPR: 2
; COMPUTE_PGM_RSRC2:TRAP_HANDLER: 0
; COMPUTE_PGM_RSRC2:TGID_X_EN: 1
; COMPUTE_PGM_RSRC2:TGID_Y_EN: 0
; COMPUTE_PGM_RSRC2:TGID_Z_EN: 0
; COMPUTE_PGM_RSRC2:TIDIG_COMP_CNT: 0
	.section	.text._Z21device_test_warp_maskILj5EEvP10TestStatus,"axG",@progbits,_Z21device_test_warp_maskILj5EEvP10TestStatus,comdat
	.protected	_Z21device_test_warp_maskILj5EEvP10TestStatus ; -- Begin function _Z21device_test_warp_maskILj5EEvP10TestStatus
	.globl	_Z21device_test_warp_maskILj5EEvP10TestStatus
	.p2align	8
	.type	_Z21device_test_warp_maskILj5EEvP10TestStatus,@function
_Z21device_test_warp_maskILj5EEvP10TestStatus: ; @_Z21device_test_warp_maskILj5EEvP10TestStatus
; %bb.0:
	s_mov_b64 s[2:3], 5
.LBB54_1:                               ; =>This Inner Loop Header: Depth=1
	s_delay_alu instid0(SALU_CYCLE_1) | instskip(NEXT) | instid1(SALU_CYCLE_1)
	s_lshl_b64 s[4:5], 1, s2
	s_and_b64 s[4:5], s[4:5], 30
	s_delay_alu instid0(SALU_CYCLE_1) | instskip(SKIP_4) | instid1(SALU_CYCLE_1)
	s_cmp_eq_u64 s[4:5], 0
	s_cselect_b32 s4, -1, 0
	s_cmp_lg_u32 s2, 63
	s_add_nc_u64 s[2:3], s[2:3], 1
	s_cselect_b32 s5, -1, 0
	s_and_b32 s5, s4, s5
	s_delay_alu instid0(SALU_CYCLE_1)
	s_and_b32 vcc_lo, exec_lo, s5
	s_cbranch_vccnz .LBB54_1
; %bb.2:
	s_load_b64 s[0:1], s[0:1], 0x0
	v_cndmask_b32_e64 v1, 0, 1, s4
	s_wait_kmcnt 0x0
	global_store_b8 v0, v1, s[0:1]
	s_endpgm
	.section	.rodata,"a",@progbits
	.p2align	6, 0x0
	.amdhsa_kernel _Z21device_test_warp_maskILj5EEvP10TestStatus
		.amdhsa_group_segment_fixed_size 0
		.amdhsa_private_segment_fixed_size 0
		.amdhsa_kernarg_size 8
		.amdhsa_user_sgpr_count 2
		.amdhsa_user_sgpr_dispatch_ptr 0
		.amdhsa_user_sgpr_queue_ptr 0
		.amdhsa_user_sgpr_kernarg_segment_ptr 1
		.amdhsa_user_sgpr_dispatch_id 0
		.amdhsa_user_sgpr_kernarg_preload_length 0
		.amdhsa_user_sgpr_kernarg_preload_offset 0
		.amdhsa_user_sgpr_private_segment_size 0
		.amdhsa_wavefront_size32 1
		.amdhsa_uses_dynamic_stack 0
		.amdhsa_enable_private_segment 0
		.amdhsa_system_sgpr_workgroup_id_x 1
		.amdhsa_system_sgpr_workgroup_id_y 0
		.amdhsa_system_sgpr_workgroup_id_z 0
		.amdhsa_system_sgpr_workgroup_info 0
		.amdhsa_system_vgpr_workitem_id 0
		.amdhsa_next_free_vgpr 2
		.amdhsa_next_free_sgpr 6
		.amdhsa_named_barrier_count 0
		.amdhsa_reserve_vcc 1
		.amdhsa_float_round_mode_32 0
		.amdhsa_float_round_mode_16_64 0
		.amdhsa_float_denorm_mode_32 3
		.amdhsa_float_denorm_mode_16_64 3
		.amdhsa_fp16_overflow 0
		.amdhsa_memory_ordered 1
		.amdhsa_forward_progress 1
		.amdhsa_inst_pref_size 1
		.amdhsa_round_robin_scheduling 0
		.amdhsa_exception_fp_ieee_invalid_op 0
		.amdhsa_exception_fp_denorm_src 0
		.amdhsa_exception_fp_ieee_div_zero 0
		.amdhsa_exception_fp_ieee_overflow 0
		.amdhsa_exception_fp_ieee_underflow 0
		.amdhsa_exception_fp_ieee_inexact 0
		.amdhsa_exception_int_div_zero 0
	.end_amdhsa_kernel
	.section	.text._Z21device_test_warp_maskILj5EEvP10TestStatus,"axG",@progbits,_Z21device_test_warp_maskILj5EEvP10TestStatus,comdat
.Lfunc_end54:
	.size	_Z21device_test_warp_maskILj5EEvP10TestStatus, .Lfunc_end54-_Z21device_test_warp_maskILj5EEvP10TestStatus
                                        ; -- End function
	.set _Z21device_test_warp_maskILj5EEvP10TestStatus.num_vgpr, 2
	.set _Z21device_test_warp_maskILj5EEvP10TestStatus.num_agpr, 0
	.set _Z21device_test_warp_maskILj5EEvP10TestStatus.numbered_sgpr, 6
	.set _Z21device_test_warp_maskILj5EEvP10TestStatus.num_named_barrier, 0
	.set _Z21device_test_warp_maskILj5EEvP10TestStatus.private_seg_size, 0
	.set _Z21device_test_warp_maskILj5EEvP10TestStatus.uses_vcc, 1
	.set _Z21device_test_warp_maskILj5EEvP10TestStatus.uses_flat_scratch, 0
	.set _Z21device_test_warp_maskILj5EEvP10TestStatus.has_dyn_sized_stack, 0
	.set _Z21device_test_warp_maskILj5EEvP10TestStatus.has_recursion, 0
	.set _Z21device_test_warp_maskILj5EEvP10TestStatus.has_indirect_call, 0
	.section	.AMDGPU.csdata,"",@progbits
; Kernel info:
; codeLenInByte = 92
; TotalNumSgprs: 8
; NumVgprs: 2
; ScratchSize: 0
; MemoryBound: 0
; FloatMode: 240
; IeeeMode: 1
; LDSByteSize: 0 bytes/workgroup (compile time only)
; SGPRBlocks: 0
; VGPRBlocks: 0
; NumSGPRsForWavesPerEU: 8
; NumVGPRsForWavesPerEU: 2
; NamedBarCnt: 0
; Occupancy: 16
; WaveLimiterHint : 0
; COMPUTE_PGM_RSRC2:SCRATCH_EN: 0
; COMPUTE_PGM_RSRC2:USER_SGPR: 2
; COMPUTE_PGM_RSRC2:TRAP_HANDLER: 0
; COMPUTE_PGM_RSRC2:TGID_X_EN: 1
; COMPUTE_PGM_RSRC2:TGID_Y_EN: 0
; COMPUTE_PGM_RSRC2:TGID_Z_EN: 0
; COMPUTE_PGM_RSRC2:TIDIG_COMP_CNT: 0
	.section	.text._Z21device_test_warp_maskILj6EEvP10TestStatus,"axG",@progbits,_Z21device_test_warp_maskILj6EEvP10TestStatus,comdat
	.protected	_Z21device_test_warp_maskILj6EEvP10TestStatus ; -- Begin function _Z21device_test_warp_maskILj6EEvP10TestStatus
	.globl	_Z21device_test_warp_maskILj6EEvP10TestStatus
	.p2align	8
	.type	_Z21device_test_warp_maskILj6EEvP10TestStatus,@function
_Z21device_test_warp_maskILj6EEvP10TestStatus: ; @_Z21device_test_warp_maskILj6EEvP10TestStatus
; %bb.0:
	s_mov_b64 s[2:3], 6
.LBB55_1:                               ; =>This Inner Loop Header: Depth=1
	s_delay_alu instid0(SALU_CYCLE_1) | instskip(NEXT) | instid1(SALU_CYCLE_1)
	s_lshl_b64 s[4:5], 1, s2
	s_and_b64 s[4:5], s[4:5], 62
	s_delay_alu instid0(SALU_CYCLE_1) | instskip(SKIP_4) | instid1(SALU_CYCLE_1)
	s_cmp_eq_u64 s[4:5], 0
	s_cselect_b32 s4, -1, 0
	s_cmp_lg_u32 s2, 63
	s_add_nc_u64 s[2:3], s[2:3], 1
	s_cselect_b32 s5, -1, 0
	s_and_b32 s5, s4, s5
	s_delay_alu instid0(SALU_CYCLE_1)
	s_and_b32 vcc_lo, exec_lo, s5
	s_cbranch_vccnz .LBB55_1
; %bb.2:
	s_load_b64 s[0:1], s[0:1], 0x0
	v_cndmask_b32_e64 v1, 0, 1, s4
	s_wait_kmcnt 0x0
	global_store_b8 v0, v1, s[0:1]
	s_endpgm
	.section	.rodata,"a",@progbits
	.p2align	6, 0x0
	.amdhsa_kernel _Z21device_test_warp_maskILj6EEvP10TestStatus
		.amdhsa_group_segment_fixed_size 0
		.amdhsa_private_segment_fixed_size 0
		.amdhsa_kernarg_size 8
		.amdhsa_user_sgpr_count 2
		.amdhsa_user_sgpr_dispatch_ptr 0
		.amdhsa_user_sgpr_queue_ptr 0
		.amdhsa_user_sgpr_kernarg_segment_ptr 1
		.amdhsa_user_sgpr_dispatch_id 0
		.amdhsa_user_sgpr_kernarg_preload_length 0
		.amdhsa_user_sgpr_kernarg_preload_offset 0
		.amdhsa_user_sgpr_private_segment_size 0
		.amdhsa_wavefront_size32 1
		.amdhsa_uses_dynamic_stack 0
		.amdhsa_enable_private_segment 0
		.amdhsa_system_sgpr_workgroup_id_x 1
		.amdhsa_system_sgpr_workgroup_id_y 0
		.amdhsa_system_sgpr_workgroup_id_z 0
		.amdhsa_system_sgpr_workgroup_info 0
		.amdhsa_system_vgpr_workitem_id 0
		.amdhsa_next_free_vgpr 2
		.amdhsa_next_free_sgpr 6
		.amdhsa_named_barrier_count 0
		.amdhsa_reserve_vcc 1
		.amdhsa_float_round_mode_32 0
		.amdhsa_float_round_mode_16_64 0
		.amdhsa_float_denorm_mode_32 3
		.amdhsa_float_denorm_mode_16_64 3
		.amdhsa_fp16_overflow 0
		.amdhsa_memory_ordered 1
		.amdhsa_forward_progress 1
		.amdhsa_inst_pref_size 1
		.amdhsa_round_robin_scheduling 0
		.amdhsa_exception_fp_ieee_invalid_op 0
		.amdhsa_exception_fp_denorm_src 0
		.amdhsa_exception_fp_ieee_div_zero 0
		.amdhsa_exception_fp_ieee_overflow 0
		.amdhsa_exception_fp_ieee_underflow 0
		.amdhsa_exception_fp_ieee_inexact 0
		.amdhsa_exception_int_div_zero 0
	.end_amdhsa_kernel
	.section	.text._Z21device_test_warp_maskILj6EEvP10TestStatus,"axG",@progbits,_Z21device_test_warp_maskILj6EEvP10TestStatus,comdat
.Lfunc_end55:
	.size	_Z21device_test_warp_maskILj6EEvP10TestStatus, .Lfunc_end55-_Z21device_test_warp_maskILj6EEvP10TestStatus
                                        ; -- End function
	.set _Z21device_test_warp_maskILj6EEvP10TestStatus.num_vgpr, 2
	.set _Z21device_test_warp_maskILj6EEvP10TestStatus.num_agpr, 0
	.set _Z21device_test_warp_maskILj6EEvP10TestStatus.numbered_sgpr, 6
	.set _Z21device_test_warp_maskILj6EEvP10TestStatus.num_named_barrier, 0
	.set _Z21device_test_warp_maskILj6EEvP10TestStatus.private_seg_size, 0
	.set _Z21device_test_warp_maskILj6EEvP10TestStatus.uses_vcc, 1
	.set _Z21device_test_warp_maskILj6EEvP10TestStatus.uses_flat_scratch, 0
	.set _Z21device_test_warp_maskILj6EEvP10TestStatus.has_dyn_sized_stack, 0
	.set _Z21device_test_warp_maskILj6EEvP10TestStatus.has_recursion, 0
	.set _Z21device_test_warp_maskILj6EEvP10TestStatus.has_indirect_call, 0
	.section	.AMDGPU.csdata,"",@progbits
; Kernel info:
; codeLenInByte = 92
; TotalNumSgprs: 8
; NumVgprs: 2
; ScratchSize: 0
; MemoryBound: 0
; FloatMode: 240
; IeeeMode: 1
; LDSByteSize: 0 bytes/workgroup (compile time only)
; SGPRBlocks: 0
; VGPRBlocks: 0
; NumSGPRsForWavesPerEU: 8
; NumVGPRsForWavesPerEU: 2
; NamedBarCnt: 0
; Occupancy: 16
; WaveLimiterHint : 0
; COMPUTE_PGM_RSRC2:SCRATCH_EN: 0
; COMPUTE_PGM_RSRC2:USER_SGPR: 2
; COMPUTE_PGM_RSRC2:TRAP_HANDLER: 0
; COMPUTE_PGM_RSRC2:TGID_X_EN: 1
; COMPUTE_PGM_RSRC2:TGID_Y_EN: 0
; COMPUTE_PGM_RSRC2:TGID_Z_EN: 0
; COMPUTE_PGM_RSRC2:TIDIG_COMP_CNT: 0
	.section	.text._Z21device_test_warp_maskILj7EEvP10TestStatus,"axG",@progbits,_Z21device_test_warp_maskILj7EEvP10TestStatus,comdat
	.protected	_Z21device_test_warp_maskILj7EEvP10TestStatus ; -- Begin function _Z21device_test_warp_maskILj7EEvP10TestStatus
	.globl	_Z21device_test_warp_maskILj7EEvP10TestStatus
	.p2align	8
	.type	_Z21device_test_warp_maskILj7EEvP10TestStatus,@function
_Z21device_test_warp_maskILj7EEvP10TestStatus: ; @_Z21device_test_warp_maskILj7EEvP10TestStatus
; %bb.0:
	s_mov_b64 s[2:3], 7
.LBB56_1:                               ; =>This Inner Loop Header: Depth=1
	s_delay_alu instid0(SALU_CYCLE_1) | instskip(NEXT) | instid1(SALU_CYCLE_1)
	s_lshl_b64 s[4:5], 1, s2
	s_and_b64 s[4:5], s[4:5], 0x7e
	s_delay_alu instid0(SALU_CYCLE_1) | instskip(SKIP_4) | instid1(SALU_CYCLE_1)
	s_cmp_eq_u64 s[4:5], 0
	s_cselect_b32 s4, -1, 0
	s_cmp_lg_u32 s2, 63
	s_add_nc_u64 s[2:3], s[2:3], 1
	s_cselect_b32 s5, -1, 0
	s_and_b32 s5, s4, s5
	s_delay_alu instid0(SALU_CYCLE_1)
	s_and_b32 vcc_lo, exec_lo, s5
	s_cbranch_vccnz .LBB56_1
; %bb.2:
	s_load_b64 s[0:1], s[0:1], 0x0
	v_cndmask_b32_e64 v1, 0, 1, s4
	s_wait_kmcnt 0x0
	global_store_b8 v0, v1, s[0:1]
	s_endpgm
	.section	.rodata,"a",@progbits
	.p2align	6, 0x0
	.amdhsa_kernel _Z21device_test_warp_maskILj7EEvP10TestStatus
		.amdhsa_group_segment_fixed_size 0
		.amdhsa_private_segment_fixed_size 0
		.amdhsa_kernarg_size 8
		.amdhsa_user_sgpr_count 2
		.amdhsa_user_sgpr_dispatch_ptr 0
		.amdhsa_user_sgpr_queue_ptr 0
		.amdhsa_user_sgpr_kernarg_segment_ptr 1
		.amdhsa_user_sgpr_dispatch_id 0
		.amdhsa_user_sgpr_kernarg_preload_length 0
		.amdhsa_user_sgpr_kernarg_preload_offset 0
		.amdhsa_user_sgpr_private_segment_size 0
		.amdhsa_wavefront_size32 1
		.amdhsa_uses_dynamic_stack 0
		.amdhsa_enable_private_segment 0
		.amdhsa_system_sgpr_workgroup_id_x 1
		.amdhsa_system_sgpr_workgroup_id_y 0
		.amdhsa_system_sgpr_workgroup_id_z 0
		.amdhsa_system_sgpr_workgroup_info 0
		.amdhsa_system_vgpr_workitem_id 0
		.amdhsa_next_free_vgpr 2
		.amdhsa_next_free_sgpr 6
		.amdhsa_named_barrier_count 0
		.amdhsa_reserve_vcc 1
		.amdhsa_float_round_mode_32 0
		.amdhsa_float_round_mode_16_64 0
		.amdhsa_float_denorm_mode_32 3
		.amdhsa_float_denorm_mode_16_64 3
		.amdhsa_fp16_overflow 0
		.amdhsa_memory_ordered 1
		.amdhsa_forward_progress 1
		.amdhsa_inst_pref_size 1
		.amdhsa_round_robin_scheduling 0
		.amdhsa_exception_fp_ieee_invalid_op 0
		.amdhsa_exception_fp_denorm_src 0
		.amdhsa_exception_fp_ieee_div_zero 0
		.amdhsa_exception_fp_ieee_overflow 0
		.amdhsa_exception_fp_ieee_underflow 0
		.amdhsa_exception_fp_ieee_inexact 0
		.amdhsa_exception_int_div_zero 0
	.end_amdhsa_kernel
	.section	.text._Z21device_test_warp_maskILj7EEvP10TestStatus,"axG",@progbits,_Z21device_test_warp_maskILj7EEvP10TestStatus,comdat
.Lfunc_end56:
	.size	_Z21device_test_warp_maskILj7EEvP10TestStatus, .Lfunc_end56-_Z21device_test_warp_maskILj7EEvP10TestStatus
                                        ; -- End function
	.set _Z21device_test_warp_maskILj7EEvP10TestStatus.num_vgpr, 2
	.set _Z21device_test_warp_maskILj7EEvP10TestStatus.num_agpr, 0
	.set _Z21device_test_warp_maskILj7EEvP10TestStatus.numbered_sgpr, 6
	.set _Z21device_test_warp_maskILj7EEvP10TestStatus.num_named_barrier, 0
	.set _Z21device_test_warp_maskILj7EEvP10TestStatus.private_seg_size, 0
	.set _Z21device_test_warp_maskILj7EEvP10TestStatus.uses_vcc, 1
	.set _Z21device_test_warp_maskILj7EEvP10TestStatus.uses_flat_scratch, 0
	.set _Z21device_test_warp_maskILj7EEvP10TestStatus.has_dyn_sized_stack, 0
	.set _Z21device_test_warp_maskILj7EEvP10TestStatus.has_recursion, 0
	.set _Z21device_test_warp_maskILj7EEvP10TestStatus.has_indirect_call, 0
	.section	.AMDGPU.csdata,"",@progbits
; Kernel info:
; codeLenInByte = 96
; TotalNumSgprs: 8
; NumVgprs: 2
; ScratchSize: 0
; MemoryBound: 0
; FloatMode: 240
; IeeeMode: 1
; LDSByteSize: 0 bytes/workgroup (compile time only)
; SGPRBlocks: 0
; VGPRBlocks: 0
; NumSGPRsForWavesPerEU: 8
; NumVGPRsForWavesPerEU: 2
; NamedBarCnt: 0
; Occupancy: 16
; WaveLimiterHint : 0
; COMPUTE_PGM_RSRC2:SCRATCH_EN: 0
; COMPUTE_PGM_RSRC2:USER_SGPR: 2
; COMPUTE_PGM_RSRC2:TRAP_HANDLER: 0
; COMPUTE_PGM_RSRC2:TGID_X_EN: 1
; COMPUTE_PGM_RSRC2:TGID_Y_EN: 0
; COMPUTE_PGM_RSRC2:TGID_Z_EN: 0
; COMPUTE_PGM_RSRC2:TIDIG_COMP_CNT: 0
	.section	.text._Z21device_test_warp_maskILj8EEvP10TestStatus,"axG",@progbits,_Z21device_test_warp_maskILj8EEvP10TestStatus,comdat
	.protected	_Z21device_test_warp_maskILj8EEvP10TestStatus ; -- Begin function _Z21device_test_warp_maskILj8EEvP10TestStatus
	.globl	_Z21device_test_warp_maskILj8EEvP10TestStatus
	.p2align	8
	.type	_Z21device_test_warp_maskILj8EEvP10TestStatus,@function
_Z21device_test_warp_maskILj8EEvP10TestStatus: ; @_Z21device_test_warp_maskILj8EEvP10TestStatus
; %bb.0:
	v_mbcnt_lo_u32_b32 v10, -1, 0
	s_mov_b32 s5, 0
	s_mov_b32 s2, -1
	s_mov_b32 s4, exec_lo
	s_delay_alu instid0(VALU_DEP_1) | instskip(NEXT) | instid1(VALU_DEP_1)
	v_and_b32_e32 v1, 24, v10
	v_lshlrev_b64_e64 v[8:9], v1, 0xff
	v_cmpx_ne_u32_e32 0, v1
	s_cbranch_execnz .LBB57_3
; %bb.1:
	s_or_b32 exec_lo, exec_lo, s4
	v_mov_b32_e32 v2, 0
	s_and_saveexec_b32 s4, s2
	s_cbranch_execnz .LBB57_6
.LBB57_2:
	s_or_b32 exec_lo, exec_lo, s4
	s_load_b64 s[0:1], s[0:1], 0x0
	s_wait_kmcnt 0x0
	global_store_b8 v0, v2, s[0:1]
	s_endpgm
.LBB57_3:
	s_delay_alu instid0(VALU_DEP_2)
	v_dual_mov_b32 v2, v8 :: v_dual_mov_b32 v3, v9
	v_dual_mov_b32 v4, v8 :: v_dual_mov_b32 v5, v9
	v_dual_mov_b32 v6, v8 :: v_dual_mov_b32 v7, v9
	v_add_nc_u32_e32 v11, -4, v1
	s_mov_b32 s6, 3
	s_mov_b32 s7, 2
	;; [unrolled: 1-line block ×4, first 2 shown]
                                        ; implicit-def: $sgpr10
.LBB57_4:                               ; =>This Inner Loop Header: Depth=1
	s_lshl_b64 s[2:3], 1, s8
	s_lshl_b64 s[16:17], 1, s7
	v_and_b32_e32 v15, s3, v3
	v_and_b32_e32 v14, s2, v2
	;; [unrolled: 1-line block ×4, first 2 shown]
	s_lshl_b64 s[14:15], 1, s6
	s_lshl_b64 s[12:13], 1, s9
	v_cmp_ne_u64_e32 vcc_lo, 0, v[14:15]
	v_and_b32_e32 v13, s15, v7
	v_and_b32_e32 v12, s14, v6
	;; [unrolled: 1-line block ×4, first 2 shown]
	s_add_co_i32 s9, s9, 4
	s_add_co_i32 s8, s8, 4
	v_cndmask_b32_e64 v14, 0, 1, vcc_lo
	v_cmp_ne_u64_e32 vcc_lo, 0, v[16:17]
	s_add_co_i32 s7, s7, 4
	s_add_co_i32 s6, s6, 4
	s_delay_alu instid0(VALU_DEP_2) | instskip(SKIP_2) | instid1(VALU_DEP_2)
	v_lshlrev_b16 v14, 1, v14
	v_cndmask_b32_e64 v15, 0, 1, vcc_lo
	v_cmp_ne_u64_e32 vcc_lo, 0, v[12:13]
	v_lshlrev_b16 v15, 2, v15
	v_cndmask_b32_e64 v12, 0, 1, vcc_lo
	v_cmp_ne_u64_e32 vcc_lo, 0, v[18:19]
	s_delay_alu instid0(VALU_DEP_2) | instskip(SKIP_2) | instid1(VALU_DEP_3)
	v_lshlrev_b16 v12, 3, v12
	v_cndmask_b32_e64 v13, 0, 1, vcc_lo
	v_cmp_eq_u32_e32 vcc_lo, 0, v11
	v_or_b32_e32 v12, v12, v15
	v_add_nc_u32_e32 v11, -4, v11
	s_delay_alu instid0(VALU_DEP_4) | instskip(NEXT) | instid1(VALU_DEP_1)
	v_bitop3_b16 v13, v13, 3, v14 bitop3:0xc8
	v_bitop3_b16 v12, v13, 15, v12 bitop3:0xc8
	s_delay_alu instid0(VALU_DEP_1) | instskip(SKIP_2) | instid1(SALU_CYCLE_1)
	v_cmp_ne_u16_e64 s2, 0, v12
	v_cmp_eq_u16_e64 s3, 0, v12
	s_or_b32 s2, s2, vcc_lo
	s_and_b32 s2, exec_lo, s2
	s_delay_alu instid0(SALU_CYCLE_1) | instskip(SKIP_2) | instid1(SALU_CYCLE_1)
	s_or_b32 s5, s2, s5
	s_and_not1_b32 s2, s10, exec_lo
	s_and_b32 s3, s3, exec_lo
	s_or_b32 s10, s2, s3
	s_and_not1_b32 exec_lo, exec_lo, s5
	s_cbranch_execnz .LBB57_4
; %bb.5:
	s_or_b32 exec_lo, exec_lo, s5
	s_delay_alu instid0(SALU_CYCLE_1)
	s_or_not1_b32 s2, s10, exec_lo
	s_or_b32 exec_lo, exec_lo, s4
	v_mov_b32_e32 v2, 0
	s_and_saveexec_b32 s4, s2
	s_cbranch_execz .LBB57_2
.LBB57_6:
	s_mov_b32 s3, -1
	s_mov_b32 s2, exec_lo
	v_cmpx_gt_u32_e32 -8, v10
	s_cbranch_execz .LBB57_20
; %bb.7:
	v_or_b32_e32 v2, 1, v1
	s_mov_b32 s5, 0
	s_mov_b32 s3, exec_lo
	s_delay_alu instid0(VALU_DEP_1) | instskip(NEXT) | instid1(VALU_DEP_1)
	v_lshrrev_b32_e32 v2, v2, v8
	v_and_b32_e32 v2, 1, v2
	s_delay_alu instid0(VALU_DEP_1)
	v_cmpx_eq_u32_e32 1, v2
	s_cbranch_execz .LBB57_19
; %bb.8:
	v_or_b32_e32 v2, 2, v1
	s_mov_b32 s6, 0
	s_mov_b32 s5, exec_lo
	s_delay_alu instid0(VALU_DEP_1) | instskip(NEXT) | instid1(VALU_DEP_1)
	v_lshrrev_b32_e32 v2, v2, v8
	v_and_b32_e32 v2, 1, v2
	s_delay_alu instid0(VALU_DEP_1)
	v_cmpx_eq_u32_e32 1, v2
	;; [unrolled: 10-line block ×6, first 2 shown]
; %bb.13:
	v_or_b32_e32 v2, 7, v10
	s_delay_alu instid0(VALU_DEP_1) | instskip(NEXT) | instid1(VALU_DEP_1)
	v_lshrrev_b32_e32 v2, v2, v8
	v_and_b32_e32 v2, 1, v2
	s_delay_alu instid0(VALU_DEP_1)
	v_cmp_eq_u32_e32 vcc_lo, 1, v2
	s_and_b32 s10, vcc_lo, exec_lo
; %bb.14:
	s_or_b32 exec_lo, exec_lo, s9
	s_delay_alu instid0(SALU_CYCLE_1)
	s_and_b32 s9, s10, exec_lo
.LBB57_15:
	s_or_b32 exec_lo, exec_lo, s8
	s_delay_alu instid0(SALU_CYCLE_1)
	s_and_b32 s8, s9, exec_lo
.LBB57_16:
	s_or_b32 exec_lo, exec_lo, s7
	s_delay_alu instid0(SALU_CYCLE_1)
	s_and_b32 s7, s8, exec_lo
.LBB57_17:
	s_or_b32 exec_lo, exec_lo, s6
	s_delay_alu instid0(SALU_CYCLE_1)
	s_and_b32 s6, s7, exec_lo
.LBB57_18:
	s_or_b32 exec_lo, exec_lo, s5
	s_delay_alu instid0(SALU_CYCLE_1)
	s_and_b32 s5, s6, exec_lo
.LBB57_19:
	s_or_b32 exec_lo, exec_lo, s3
	s_delay_alu instid0(SALU_CYCLE_1)
	s_or_not1_b32 s3, s5, exec_lo
.LBB57_20:
	s_or_b32 exec_lo, exec_lo, s2
	v_mov_b32_e32 v2, 0
	s_and_saveexec_b32 s5, s3
	s_cbranch_execz .LBB57_26
; %bb.21:
	v_add_nc_u32_e32 v2, 8, v1
	s_mov_b32 s2, -1
	s_mov_b32 s6, exec_lo
	s_delay_alu instid0(VALU_DEP_1)
	v_cmpx_gt_u32_e32 64, v2
	s_cbranch_execz .LBB57_25
; %bb.22:
	v_mov_b32_e32 v3, 0
	s_mov_b32 s7, 0
                                        ; implicit-def: $sgpr8
.LBB57_23:                              ; =>This Inner Loop Header: Depth=1
	v_lshlrev_b64_e64 v[4:5], v2, 1
	v_cmp_lt_u32_e64 s2, 62, v2
	s_delay_alu instid0(VALU_DEP_3) | instskip(NEXT) | instid1(VALU_DEP_3)
	v_add_nc_u64_e32 v[2:3], 1, v[2:3]
	v_and_b32_e32 v5, v5, v9
	s_delay_alu instid0(VALU_DEP_4) | instskip(NEXT) | instid1(VALU_DEP_1)
	v_and_b32_e32 v4, v4, v8
	v_cmp_ne_u64_e32 vcc_lo, 0, v[4:5]
	v_cmp_eq_u64_e64 s3, 0, v[4:5]
	s_or_b32 s2, s2, vcc_lo
	s_delay_alu instid0(SALU_CYCLE_1) | instskip(NEXT) | instid1(SALU_CYCLE_1)
	s_and_b32 s2, exec_lo, s2
	s_or_b32 s7, s2, s7
	s_and_not1_b32 s2, s8, exec_lo
	s_and_b32 s3, s3, exec_lo
	s_delay_alu instid0(SALU_CYCLE_1)
	s_or_b32 s8, s2, s3
	s_and_not1_b32 exec_lo, exec_lo, s7
	s_cbranch_execnz .LBB57_23
; %bb.24:
	s_or_b32 exec_lo, exec_lo, s7
	s_delay_alu instid0(SALU_CYCLE_1)
	s_or_not1_b32 s2, s8, exec_lo
.LBB57_25:
	s_or_b32 exec_lo, exec_lo, s6
	v_cndmask_b32_e64 v2, 0, 1, s2
.LBB57_26:
	s_or_b32 exec_lo, exec_lo, s5
	s_delay_alu instid0(SALU_CYCLE_1)
	s_or_b32 exec_lo, exec_lo, s4
	s_load_b64 s[0:1], s[0:1], 0x0
	s_wait_kmcnt 0x0
	global_store_b8 v0, v2, s[0:1]
	s_endpgm
	.section	.rodata,"a",@progbits
	.p2align	6, 0x0
	.amdhsa_kernel _Z21device_test_warp_maskILj8EEvP10TestStatus
		.amdhsa_group_segment_fixed_size 0
		.amdhsa_private_segment_fixed_size 0
		.amdhsa_kernarg_size 8
		.amdhsa_user_sgpr_count 2
		.amdhsa_user_sgpr_dispatch_ptr 0
		.amdhsa_user_sgpr_queue_ptr 0
		.amdhsa_user_sgpr_kernarg_segment_ptr 1
		.amdhsa_user_sgpr_dispatch_id 0
		.amdhsa_user_sgpr_kernarg_preload_length 0
		.amdhsa_user_sgpr_kernarg_preload_offset 0
		.amdhsa_user_sgpr_private_segment_size 0
		.amdhsa_wavefront_size32 1
		.amdhsa_uses_dynamic_stack 0
		.amdhsa_enable_private_segment 0
		.amdhsa_system_sgpr_workgroup_id_x 1
		.amdhsa_system_sgpr_workgroup_id_y 0
		.amdhsa_system_sgpr_workgroup_id_z 0
		.amdhsa_system_sgpr_workgroup_info 0
		.amdhsa_system_vgpr_workitem_id 0
		.amdhsa_next_free_vgpr 20
		.amdhsa_next_free_sgpr 18
		.amdhsa_named_barrier_count 0
		.amdhsa_reserve_vcc 1
		.amdhsa_float_round_mode_32 0
		.amdhsa_float_round_mode_16_64 0
		.amdhsa_float_denorm_mode_32 3
		.amdhsa_float_denorm_mode_16_64 3
		.amdhsa_fp16_overflow 0
		.amdhsa_memory_ordered 1
		.amdhsa_forward_progress 1
		.amdhsa_inst_pref_size 8
		.amdhsa_round_robin_scheduling 0
		.amdhsa_exception_fp_ieee_invalid_op 0
		.amdhsa_exception_fp_denorm_src 0
		.amdhsa_exception_fp_ieee_div_zero 0
		.amdhsa_exception_fp_ieee_overflow 0
		.amdhsa_exception_fp_ieee_underflow 0
		.amdhsa_exception_fp_ieee_inexact 0
		.amdhsa_exception_int_div_zero 0
	.end_amdhsa_kernel
	.section	.text._Z21device_test_warp_maskILj8EEvP10TestStatus,"axG",@progbits,_Z21device_test_warp_maskILj8EEvP10TestStatus,comdat
.Lfunc_end57:
	.size	_Z21device_test_warp_maskILj8EEvP10TestStatus, .Lfunc_end57-_Z21device_test_warp_maskILj8EEvP10TestStatus
                                        ; -- End function
	.set _Z21device_test_warp_maskILj8EEvP10TestStatus.num_vgpr, 20
	.set _Z21device_test_warp_maskILj8EEvP10TestStatus.num_agpr, 0
	.set _Z21device_test_warp_maskILj8EEvP10TestStatus.numbered_sgpr, 18
	.set _Z21device_test_warp_maskILj8EEvP10TestStatus.num_named_barrier, 0
	.set _Z21device_test_warp_maskILj8EEvP10TestStatus.private_seg_size, 0
	.set _Z21device_test_warp_maskILj8EEvP10TestStatus.uses_vcc, 1
	.set _Z21device_test_warp_maskILj8EEvP10TestStatus.uses_flat_scratch, 0
	.set _Z21device_test_warp_maskILj8EEvP10TestStatus.has_dyn_sized_stack, 0
	.set _Z21device_test_warp_maskILj8EEvP10TestStatus.has_recursion, 0
	.set _Z21device_test_warp_maskILj8EEvP10TestStatus.has_indirect_call, 0
	.section	.AMDGPU.csdata,"",@progbits
; Kernel info:
; codeLenInByte = 932
; TotalNumSgprs: 20
; NumVgprs: 20
; ScratchSize: 0
; MemoryBound: 0
; FloatMode: 240
; IeeeMode: 1
; LDSByteSize: 0 bytes/workgroup (compile time only)
; SGPRBlocks: 0
; VGPRBlocks: 1
; NumSGPRsForWavesPerEU: 20
; NumVGPRsForWavesPerEU: 20
; NamedBarCnt: 0
; Occupancy: 16
; WaveLimiterHint : 0
; COMPUTE_PGM_RSRC2:SCRATCH_EN: 0
; COMPUTE_PGM_RSRC2:USER_SGPR: 2
; COMPUTE_PGM_RSRC2:TRAP_HANDLER: 0
; COMPUTE_PGM_RSRC2:TGID_X_EN: 1
; COMPUTE_PGM_RSRC2:TGID_Y_EN: 0
; COMPUTE_PGM_RSRC2:TGID_Z_EN: 0
; COMPUTE_PGM_RSRC2:TIDIG_COMP_CNT: 0
	.section	.text._Z21device_test_warp_maskILj9EEvP10TestStatus,"axG",@progbits,_Z21device_test_warp_maskILj9EEvP10TestStatus,comdat
	.protected	_Z21device_test_warp_maskILj9EEvP10TestStatus ; -- Begin function _Z21device_test_warp_maskILj9EEvP10TestStatus
	.globl	_Z21device_test_warp_maskILj9EEvP10TestStatus
	.p2align	8
	.type	_Z21device_test_warp_maskILj9EEvP10TestStatus,@function
_Z21device_test_warp_maskILj9EEvP10TestStatus: ; @_Z21device_test_warp_maskILj9EEvP10TestStatus
; %bb.0:
	s_mov_b64 s[2:3], 9
.LBB58_1:                               ; =>This Inner Loop Header: Depth=1
	s_delay_alu instid0(SALU_CYCLE_1) | instskip(NEXT) | instid1(SALU_CYCLE_1)
	s_lshl_b64 s[4:5], 1, s2
	s_and_b64 s[4:5], s[4:5], 0x1fe
	s_delay_alu instid0(SALU_CYCLE_1) | instskip(SKIP_4) | instid1(SALU_CYCLE_1)
	s_cmp_eq_u64 s[4:5], 0
	s_cselect_b32 s4, -1, 0
	s_cmp_lg_u32 s2, 63
	s_add_nc_u64 s[2:3], s[2:3], 1
	s_cselect_b32 s5, -1, 0
	s_and_b32 s5, s4, s5
	s_delay_alu instid0(SALU_CYCLE_1)
	s_and_b32 vcc_lo, exec_lo, s5
	s_cbranch_vccnz .LBB58_1
; %bb.2:
	s_load_b64 s[0:1], s[0:1], 0x0
	v_cndmask_b32_e64 v1, 0, 1, s4
	s_wait_kmcnt 0x0
	global_store_b8 v0, v1, s[0:1]
	s_endpgm
	.section	.rodata,"a",@progbits
	.p2align	6, 0x0
	.amdhsa_kernel _Z21device_test_warp_maskILj9EEvP10TestStatus
		.amdhsa_group_segment_fixed_size 0
		.amdhsa_private_segment_fixed_size 0
		.amdhsa_kernarg_size 8
		.amdhsa_user_sgpr_count 2
		.amdhsa_user_sgpr_dispatch_ptr 0
		.amdhsa_user_sgpr_queue_ptr 0
		.amdhsa_user_sgpr_kernarg_segment_ptr 1
		.amdhsa_user_sgpr_dispatch_id 0
		.amdhsa_user_sgpr_kernarg_preload_length 0
		.amdhsa_user_sgpr_kernarg_preload_offset 0
		.amdhsa_user_sgpr_private_segment_size 0
		.amdhsa_wavefront_size32 1
		.amdhsa_uses_dynamic_stack 0
		.amdhsa_enable_private_segment 0
		.amdhsa_system_sgpr_workgroup_id_x 1
		.amdhsa_system_sgpr_workgroup_id_y 0
		.amdhsa_system_sgpr_workgroup_id_z 0
		.amdhsa_system_sgpr_workgroup_info 0
		.amdhsa_system_vgpr_workitem_id 0
		.amdhsa_next_free_vgpr 2
		.amdhsa_next_free_sgpr 6
		.amdhsa_named_barrier_count 0
		.amdhsa_reserve_vcc 1
		.amdhsa_float_round_mode_32 0
		.amdhsa_float_round_mode_16_64 0
		.amdhsa_float_denorm_mode_32 3
		.amdhsa_float_denorm_mode_16_64 3
		.amdhsa_fp16_overflow 0
		.amdhsa_memory_ordered 1
		.amdhsa_forward_progress 1
		.amdhsa_inst_pref_size 1
		.amdhsa_round_robin_scheduling 0
		.amdhsa_exception_fp_ieee_invalid_op 0
		.amdhsa_exception_fp_denorm_src 0
		.amdhsa_exception_fp_ieee_div_zero 0
		.amdhsa_exception_fp_ieee_overflow 0
		.amdhsa_exception_fp_ieee_underflow 0
		.amdhsa_exception_fp_ieee_inexact 0
		.amdhsa_exception_int_div_zero 0
	.end_amdhsa_kernel
	.section	.text._Z21device_test_warp_maskILj9EEvP10TestStatus,"axG",@progbits,_Z21device_test_warp_maskILj9EEvP10TestStatus,comdat
.Lfunc_end58:
	.size	_Z21device_test_warp_maskILj9EEvP10TestStatus, .Lfunc_end58-_Z21device_test_warp_maskILj9EEvP10TestStatus
                                        ; -- End function
	.set _Z21device_test_warp_maskILj9EEvP10TestStatus.num_vgpr, 2
	.set _Z21device_test_warp_maskILj9EEvP10TestStatus.num_agpr, 0
	.set _Z21device_test_warp_maskILj9EEvP10TestStatus.numbered_sgpr, 6
	.set _Z21device_test_warp_maskILj9EEvP10TestStatus.num_named_barrier, 0
	.set _Z21device_test_warp_maskILj9EEvP10TestStatus.private_seg_size, 0
	.set _Z21device_test_warp_maskILj9EEvP10TestStatus.uses_vcc, 1
	.set _Z21device_test_warp_maskILj9EEvP10TestStatus.uses_flat_scratch, 0
	.set _Z21device_test_warp_maskILj9EEvP10TestStatus.has_dyn_sized_stack, 0
	.set _Z21device_test_warp_maskILj9EEvP10TestStatus.has_recursion, 0
	.set _Z21device_test_warp_maskILj9EEvP10TestStatus.has_indirect_call, 0
	.section	.AMDGPU.csdata,"",@progbits
; Kernel info:
; codeLenInByte = 96
; TotalNumSgprs: 8
; NumVgprs: 2
; ScratchSize: 0
; MemoryBound: 0
; FloatMode: 240
; IeeeMode: 1
; LDSByteSize: 0 bytes/workgroup (compile time only)
; SGPRBlocks: 0
; VGPRBlocks: 0
; NumSGPRsForWavesPerEU: 8
; NumVGPRsForWavesPerEU: 2
; NamedBarCnt: 0
; Occupancy: 16
; WaveLimiterHint : 0
; COMPUTE_PGM_RSRC2:SCRATCH_EN: 0
; COMPUTE_PGM_RSRC2:USER_SGPR: 2
; COMPUTE_PGM_RSRC2:TRAP_HANDLER: 0
; COMPUTE_PGM_RSRC2:TGID_X_EN: 1
; COMPUTE_PGM_RSRC2:TGID_Y_EN: 0
; COMPUTE_PGM_RSRC2:TGID_Z_EN: 0
; COMPUTE_PGM_RSRC2:TIDIG_COMP_CNT: 0
	.section	.text._Z21device_test_warp_maskILj10EEvP10TestStatus,"axG",@progbits,_Z21device_test_warp_maskILj10EEvP10TestStatus,comdat
	.protected	_Z21device_test_warp_maskILj10EEvP10TestStatus ; -- Begin function _Z21device_test_warp_maskILj10EEvP10TestStatus
	.globl	_Z21device_test_warp_maskILj10EEvP10TestStatus
	.p2align	8
	.type	_Z21device_test_warp_maskILj10EEvP10TestStatus,@function
_Z21device_test_warp_maskILj10EEvP10TestStatus: ; @_Z21device_test_warp_maskILj10EEvP10TestStatus
; %bb.0:
	s_mov_b64 s[2:3], 10
.LBB59_1:                               ; =>This Inner Loop Header: Depth=1
	s_delay_alu instid0(SALU_CYCLE_1) | instskip(NEXT) | instid1(SALU_CYCLE_1)
	s_lshl_b64 s[4:5], 1, s2
	s_and_b64 s[4:5], s[4:5], 0x3fe
	s_delay_alu instid0(SALU_CYCLE_1) | instskip(SKIP_4) | instid1(SALU_CYCLE_1)
	s_cmp_eq_u64 s[4:5], 0
	s_cselect_b32 s4, -1, 0
	s_cmp_lg_u32 s2, 63
	s_add_nc_u64 s[2:3], s[2:3], 1
	s_cselect_b32 s5, -1, 0
	s_and_b32 s5, s4, s5
	s_delay_alu instid0(SALU_CYCLE_1)
	s_and_b32 vcc_lo, exec_lo, s5
	s_cbranch_vccnz .LBB59_1
; %bb.2:
	s_load_b64 s[0:1], s[0:1], 0x0
	v_cndmask_b32_e64 v1, 0, 1, s4
	s_wait_kmcnt 0x0
	global_store_b8 v0, v1, s[0:1]
	s_endpgm
	.section	.rodata,"a",@progbits
	.p2align	6, 0x0
	.amdhsa_kernel _Z21device_test_warp_maskILj10EEvP10TestStatus
		.amdhsa_group_segment_fixed_size 0
		.amdhsa_private_segment_fixed_size 0
		.amdhsa_kernarg_size 8
		.amdhsa_user_sgpr_count 2
		.amdhsa_user_sgpr_dispatch_ptr 0
		.amdhsa_user_sgpr_queue_ptr 0
		.amdhsa_user_sgpr_kernarg_segment_ptr 1
		.amdhsa_user_sgpr_dispatch_id 0
		.amdhsa_user_sgpr_kernarg_preload_length 0
		.amdhsa_user_sgpr_kernarg_preload_offset 0
		.amdhsa_user_sgpr_private_segment_size 0
		.amdhsa_wavefront_size32 1
		.amdhsa_uses_dynamic_stack 0
		.amdhsa_enable_private_segment 0
		.amdhsa_system_sgpr_workgroup_id_x 1
		.amdhsa_system_sgpr_workgroup_id_y 0
		.amdhsa_system_sgpr_workgroup_id_z 0
		.amdhsa_system_sgpr_workgroup_info 0
		.amdhsa_system_vgpr_workitem_id 0
		.amdhsa_next_free_vgpr 2
		.amdhsa_next_free_sgpr 6
		.amdhsa_named_barrier_count 0
		.amdhsa_reserve_vcc 1
		.amdhsa_float_round_mode_32 0
		.amdhsa_float_round_mode_16_64 0
		.amdhsa_float_denorm_mode_32 3
		.amdhsa_float_denorm_mode_16_64 3
		.amdhsa_fp16_overflow 0
		.amdhsa_memory_ordered 1
		.amdhsa_forward_progress 1
		.amdhsa_inst_pref_size 1
		.amdhsa_round_robin_scheduling 0
		.amdhsa_exception_fp_ieee_invalid_op 0
		.amdhsa_exception_fp_denorm_src 0
		.amdhsa_exception_fp_ieee_div_zero 0
		.amdhsa_exception_fp_ieee_overflow 0
		.amdhsa_exception_fp_ieee_underflow 0
		.amdhsa_exception_fp_ieee_inexact 0
		.amdhsa_exception_int_div_zero 0
	.end_amdhsa_kernel
	.section	.text._Z21device_test_warp_maskILj10EEvP10TestStatus,"axG",@progbits,_Z21device_test_warp_maskILj10EEvP10TestStatus,comdat
.Lfunc_end59:
	.size	_Z21device_test_warp_maskILj10EEvP10TestStatus, .Lfunc_end59-_Z21device_test_warp_maskILj10EEvP10TestStatus
                                        ; -- End function
	.set _Z21device_test_warp_maskILj10EEvP10TestStatus.num_vgpr, 2
	.set _Z21device_test_warp_maskILj10EEvP10TestStatus.num_agpr, 0
	.set _Z21device_test_warp_maskILj10EEvP10TestStatus.numbered_sgpr, 6
	.set _Z21device_test_warp_maskILj10EEvP10TestStatus.num_named_barrier, 0
	.set _Z21device_test_warp_maskILj10EEvP10TestStatus.private_seg_size, 0
	.set _Z21device_test_warp_maskILj10EEvP10TestStatus.uses_vcc, 1
	.set _Z21device_test_warp_maskILj10EEvP10TestStatus.uses_flat_scratch, 0
	.set _Z21device_test_warp_maskILj10EEvP10TestStatus.has_dyn_sized_stack, 0
	.set _Z21device_test_warp_maskILj10EEvP10TestStatus.has_recursion, 0
	.set _Z21device_test_warp_maskILj10EEvP10TestStatus.has_indirect_call, 0
	.section	.AMDGPU.csdata,"",@progbits
; Kernel info:
; codeLenInByte = 96
; TotalNumSgprs: 8
; NumVgprs: 2
; ScratchSize: 0
; MemoryBound: 0
; FloatMode: 240
; IeeeMode: 1
; LDSByteSize: 0 bytes/workgroup (compile time only)
; SGPRBlocks: 0
; VGPRBlocks: 0
; NumSGPRsForWavesPerEU: 8
; NumVGPRsForWavesPerEU: 2
; NamedBarCnt: 0
; Occupancy: 16
; WaveLimiterHint : 0
; COMPUTE_PGM_RSRC2:SCRATCH_EN: 0
; COMPUTE_PGM_RSRC2:USER_SGPR: 2
; COMPUTE_PGM_RSRC2:TRAP_HANDLER: 0
; COMPUTE_PGM_RSRC2:TGID_X_EN: 1
; COMPUTE_PGM_RSRC2:TGID_Y_EN: 0
; COMPUTE_PGM_RSRC2:TGID_Z_EN: 0
; COMPUTE_PGM_RSRC2:TIDIG_COMP_CNT: 0
	.section	.text._Z21device_test_warp_maskILj11EEvP10TestStatus,"axG",@progbits,_Z21device_test_warp_maskILj11EEvP10TestStatus,comdat
	.protected	_Z21device_test_warp_maskILj11EEvP10TestStatus ; -- Begin function _Z21device_test_warp_maskILj11EEvP10TestStatus
	.globl	_Z21device_test_warp_maskILj11EEvP10TestStatus
	.p2align	8
	.type	_Z21device_test_warp_maskILj11EEvP10TestStatus,@function
_Z21device_test_warp_maskILj11EEvP10TestStatus: ; @_Z21device_test_warp_maskILj11EEvP10TestStatus
; %bb.0:
	s_mov_b64 s[2:3], 11
.LBB60_1:                               ; =>This Inner Loop Header: Depth=1
	s_delay_alu instid0(SALU_CYCLE_1) | instskip(NEXT) | instid1(SALU_CYCLE_1)
	s_lshl_b64 s[4:5], 1, s2
	s_and_b64 s[4:5], s[4:5], 0x7fe
	s_delay_alu instid0(SALU_CYCLE_1) | instskip(SKIP_4) | instid1(SALU_CYCLE_1)
	s_cmp_eq_u64 s[4:5], 0
	s_cselect_b32 s4, -1, 0
	s_cmp_lg_u32 s2, 63
	s_add_nc_u64 s[2:3], s[2:3], 1
	s_cselect_b32 s5, -1, 0
	s_and_b32 s5, s4, s5
	s_delay_alu instid0(SALU_CYCLE_1)
	s_and_b32 vcc_lo, exec_lo, s5
	s_cbranch_vccnz .LBB60_1
; %bb.2:
	s_load_b64 s[0:1], s[0:1], 0x0
	v_cndmask_b32_e64 v1, 0, 1, s4
	s_wait_kmcnt 0x0
	global_store_b8 v0, v1, s[0:1]
	s_endpgm
	.section	.rodata,"a",@progbits
	.p2align	6, 0x0
	.amdhsa_kernel _Z21device_test_warp_maskILj11EEvP10TestStatus
		.amdhsa_group_segment_fixed_size 0
		.amdhsa_private_segment_fixed_size 0
		.amdhsa_kernarg_size 8
		.amdhsa_user_sgpr_count 2
		.amdhsa_user_sgpr_dispatch_ptr 0
		.amdhsa_user_sgpr_queue_ptr 0
		.amdhsa_user_sgpr_kernarg_segment_ptr 1
		.amdhsa_user_sgpr_dispatch_id 0
		.amdhsa_user_sgpr_kernarg_preload_length 0
		.amdhsa_user_sgpr_kernarg_preload_offset 0
		.amdhsa_user_sgpr_private_segment_size 0
		.amdhsa_wavefront_size32 1
		.amdhsa_uses_dynamic_stack 0
		.amdhsa_enable_private_segment 0
		.amdhsa_system_sgpr_workgroup_id_x 1
		.amdhsa_system_sgpr_workgroup_id_y 0
		.amdhsa_system_sgpr_workgroup_id_z 0
		.amdhsa_system_sgpr_workgroup_info 0
		.amdhsa_system_vgpr_workitem_id 0
		.amdhsa_next_free_vgpr 2
		.amdhsa_next_free_sgpr 6
		.amdhsa_named_barrier_count 0
		.amdhsa_reserve_vcc 1
		.amdhsa_float_round_mode_32 0
		.amdhsa_float_round_mode_16_64 0
		.amdhsa_float_denorm_mode_32 3
		.amdhsa_float_denorm_mode_16_64 3
		.amdhsa_fp16_overflow 0
		.amdhsa_memory_ordered 1
		.amdhsa_forward_progress 1
		.amdhsa_inst_pref_size 1
		.amdhsa_round_robin_scheduling 0
		.amdhsa_exception_fp_ieee_invalid_op 0
		.amdhsa_exception_fp_denorm_src 0
		.amdhsa_exception_fp_ieee_div_zero 0
		.amdhsa_exception_fp_ieee_overflow 0
		.amdhsa_exception_fp_ieee_underflow 0
		.amdhsa_exception_fp_ieee_inexact 0
		.amdhsa_exception_int_div_zero 0
	.end_amdhsa_kernel
	.section	.text._Z21device_test_warp_maskILj11EEvP10TestStatus,"axG",@progbits,_Z21device_test_warp_maskILj11EEvP10TestStatus,comdat
.Lfunc_end60:
	.size	_Z21device_test_warp_maskILj11EEvP10TestStatus, .Lfunc_end60-_Z21device_test_warp_maskILj11EEvP10TestStatus
                                        ; -- End function
	.set _Z21device_test_warp_maskILj11EEvP10TestStatus.num_vgpr, 2
	.set _Z21device_test_warp_maskILj11EEvP10TestStatus.num_agpr, 0
	.set _Z21device_test_warp_maskILj11EEvP10TestStatus.numbered_sgpr, 6
	.set _Z21device_test_warp_maskILj11EEvP10TestStatus.num_named_barrier, 0
	.set _Z21device_test_warp_maskILj11EEvP10TestStatus.private_seg_size, 0
	.set _Z21device_test_warp_maskILj11EEvP10TestStatus.uses_vcc, 1
	.set _Z21device_test_warp_maskILj11EEvP10TestStatus.uses_flat_scratch, 0
	.set _Z21device_test_warp_maskILj11EEvP10TestStatus.has_dyn_sized_stack, 0
	.set _Z21device_test_warp_maskILj11EEvP10TestStatus.has_recursion, 0
	.set _Z21device_test_warp_maskILj11EEvP10TestStatus.has_indirect_call, 0
	.section	.AMDGPU.csdata,"",@progbits
; Kernel info:
; codeLenInByte = 96
; TotalNumSgprs: 8
; NumVgprs: 2
; ScratchSize: 0
; MemoryBound: 0
; FloatMode: 240
; IeeeMode: 1
; LDSByteSize: 0 bytes/workgroup (compile time only)
; SGPRBlocks: 0
; VGPRBlocks: 0
; NumSGPRsForWavesPerEU: 8
; NumVGPRsForWavesPerEU: 2
; NamedBarCnt: 0
; Occupancy: 16
; WaveLimiterHint : 0
; COMPUTE_PGM_RSRC2:SCRATCH_EN: 0
; COMPUTE_PGM_RSRC2:USER_SGPR: 2
; COMPUTE_PGM_RSRC2:TRAP_HANDLER: 0
; COMPUTE_PGM_RSRC2:TGID_X_EN: 1
; COMPUTE_PGM_RSRC2:TGID_Y_EN: 0
; COMPUTE_PGM_RSRC2:TGID_Z_EN: 0
; COMPUTE_PGM_RSRC2:TIDIG_COMP_CNT: 0
	.section	.text._Z21device_test_warp_maskILj12EEvP10TestStatus,"axG",@progbits,_Z21device_test_warp_maskILj12EEvP10TestStatus,comdat
	.protected	_Z21device_test_warp_maskILj12EEvP10TestStatus ; -- Begin function _Z21device_test_warp_maskILj12EEvP10TestStatus
	.globl	_Z21device_test_warp_maskILj12EEvP10TestStatus
	.p2align	8
	.type	_Z21device_test_warp_maskILj12EEvP10TestStatus,@function
_Z21device_test_warp_maskILj12EEvP10TestStatus: ; @_Z21device_test_warp_maskILj12EEvP10TestStatus
; %bb.0:
	s_mov_b64 s[2:3], 12
.LBB61_1:                               ; =>This Inner Loop Header: Depth=1
	s_delay_alu instid0(SALU_CYCLE_1) | instskip(NEXT) | instid1(SALU_CYCLE_1)
	s_lshl_b64 s[4:5], 1, s2
	s_and_b64 s[4:5], s[4:5], 0xffe
	s_delay_alu instid0(SALU_CYCLE_1) | instskip(SKIP_4) | instid1(SALU_CYCLE_1)
	s_cmp_eq_u64 s[4:5], 0
	s_cselect_b32 s4, -1, 0
	s_cmp_lg_u32 s2, 63
	s_add_nc_u64 s[2:3], s[2:3], 1
	s_cselect_b32 s5, -1, 0
	s_and_b32 s5, s4, s5
	s_delay_alu instid0(SALU_CYCLE_1)
	s_and_b32 vcc_lo, exec_lo, s5
	s_cbranch_vccnz .LBB61_1
; %bb.2:
	s_load_b64 s[0:1], s[0:1], 0x0
	v_cndmask_b32_e64 v1, 0, 1, s4
	s_wait_kmcnt 0x0
	global_store_b8 v0, v1, s[0:1]
	s_endpgm
	.section	.rodata,"a",@progbits
	.p2align	6, 0x0
	.amdhsa_kernel _Z21device_test_warp_maskILj12EEvP10TestStatus
		.amdhsa_group_segment_fixed_size 0
		.amdhsa_private_segment_fixed_size 0
		.amdhsa_kernarg_size 8
		.amdhsa_user_sgpr_count 2
		.amdhsa_user_sgpr_dispatch_ptr 0
		.amdhsa_user_sgpr_queue_ptr 0
		.amdhsa_user_sgpr_kernarg_segment_ptr 1
		.amdhsa_user_sgpr_dispatch_id 0
		.amdhsa_user_sgpr_kernarg_preload_length 0
		.amdhsa_user_sgpr_kernarg_preload_offset 0
		.amdhsa_user_sgpr_private_segment_size 0
		.amdhsa_wavefront_size32 1
		.amdhsa_uses_dynamic_stack 0
		.amdhsa_enable_private_segment 0
		.amdhsa_system_sgpr_workgroup_id_x 1
		.amdhsa_system_sgpr_workgroup_id_y 0
		.amdhsa_system_sgpr_workgroup_id_z 0
		.amdhsa_system_sgpr_workgroup_info 0
		.amdhsa_system_vgpr_workitem_id 0
		.amdhsa_next_free_vgpr 2
		.amdhsa_next_free_sgpr 6
		.amdhsa_named_barrier_count 0
		.amdhsa_reserve_vcc 1
		.amdhsa_float_round_mode_32 0
		.amdhsa_float_round_mode_16_64 0
		.amdhsa_float_denorm_mode_32 3
		.amdhsa_float_denorm_mode_16_64 3
		.amdhsa_fp16_overflow 0
		.amdhsa_memory_ordered 1
		.amdhsa_forward_progress 1
		.amdhsa_inst_pref_size 1
		.amdhsa_round_robin_scheduling 0
		.amdhsa_exception_fp_ieee_invalid_op 0
		.amdhsa_exception_fp_denorm_src 0
		.amdhsa_exception_fp_ieee_div_zero 0
		.amdhsa_exception_fp_ieee_overflow 0
		.amdhsa_exception_fp_ieee_underflow 0
		.amdhsa_exception_fp_ieee_inexact 0
		.amdhsa_exception_int_div_zero 0
	.end_amdhsa_kernel
	.section	.text._Z21device_test_warp_maskILj12EEvP10TestStatus,"axG",@progbits,_Z21device_test_warp_maskILj12EEvP10TestStatus,comdat
.Lfunc_end61:
	.size	_Z21device_test_warp_maskILj12EEvP10TestStatus, .Lfunc_end61-_Z21device_test_warp_maskILj12EEvP10TestStatus
                                        ; -- End function
	.set _Z21device_test_warp_maskILj12EEvP10TestStatus.num_vgpr, 2
	.set _Z21device_test_warp_maskILj12EEvP10TestStatus.num_agpr, 0
	.set _Z21device_test_warp_maskILj12EEvP10TestStatus.numbered_sgpr, 6
	.set _Z21device_test_warp_maskILj12EEvP10TestStatus.num_named_barrier, 0
	.set _Z21device_test_warp_maskILj12EEvP10TestStatus.private_seg_size, 0
	.set _Z21device_test_warp_maskILj12EEvP10TestStatus.uses_vcc, 1
	.set _Z21device_test_warp_maskILj12EEvP10TestStatus.uses_flat_scratch, 0
	.set _Z21device_test_warp_maskILj12EEvP10TestStatus.has_dyn_sized_stack, 0
	.set _Z21device_test_warp_maskILj12EEvP10TestStatus.has_recursion, 0
	.set _Z21device_test_warp_maskILj12EEvP10TestStatus.has_indirect_call, 0
	.section	.AMDGPU.csdata,"",@progbits
; Kernel info:
; codeLenInByte = 96
; TotalNumSgprs: 8
; NumVgprs: 2
; ScratchSize: 0
; MemoryBound: 0
; FloatMode: 240
; IeeeMode: 1
; LDSByteSize: 0 bytes/workgroup (compile time only)
; SGPRBlocks: 0
; VGPRBlocks: 0
; NumSGPRsForWavesPerEU: 8
; NumVGPRsForWavesPerEU: 2
; NamedBarCnt: 0
; Occupancy: 16
; WaveLimiterHint : 0
; COMPUTE_PGM_RSRC2:SCRATCH_EN: 0
; COMPUTE_PGM_RSRC2:USER_SGPR: 2
; COMPUTE_PGM_RSRC2:TRAP_HANDLER: 0
; COMPUTE_PGM_RSRC2:TGID_X_EN: 1
; COMPUTE_PGM_RSRC2:TGID_Y_EN: 0
; COMPUTE_PGM_RSRC2:TGID_Z_EN: 0
; COMPUTE_PGM_RSRC2:TIDIG_COMP_CNT: 0
	.section	.text._Z21device_test_warp_maskILj13EEvP10TestStatus,"axG",@progbits,_Z21device_test_warp_maskILj13EEvP10TestStatus,comdat
	.protected	_Z21device_test_warp_maskILj13EEvP10TestStatus ; -- Begin function _Z21device_test_warp_maskILj13EEvP10TestStatus
	.globl	_Z21device_test_warp_maskILj13EEvP10TestStatus
	.p2align	8
	.type	_Z21device_test_warp_maskILj13EEvP10TestStatus,@function
_Z21device_test_warp_maskILj13EEvP10TestStatus: ; @_Z21device_test_warp_maskILj13EEvP10TestStatus
; %bb.0:
	s_mov_b64 s[2:3], 13
.LBB62_1:                               ; =>This Inner Loop Header: Depth=1
	s_delay_alu instid0(SALU_CYCLE_1) | instskip(NEXT) | instid1(SALU_CYCLE_1)
	s_lshl_b64 s[4:5], 1, s2
	s_and_b64 s[4:5], s[4:5], 0x1ffe
	s_delay_alu instid0(SALU_CYCLE_1) | instskip(SKIP_4) | instid1(SALU_CYCLE_1)
	s_cmp_eq_u64 s[4:5], 0
	s_cselect_b32 s4, -1, 0
	s_cmp_lg_u32 s2, 63
	s_add_nc_u64 s[2:3], s[2:3], 1
	s_cselect_b32 s5, -1, 0
	s_and_b32 s5, s4, s5
	s_delay_alu instid0(SALU_CYCLE_1)
	s_and_b32 vcc_lo, exec_lo, s5
	s_cbranch_vccnz .LBB62_1
; %bb.2:
	s_load_b64 s[0:1], s[0:1], 0x0
	v_cndmask_b32_e64 v1, 0, 1, s4
	s_wait_kmcnt 0x0
	global_store_b8 v0, v1, s[0:1]
	s_endpgm
	.section	.rodata,"a",@progbits
	.p2align	6, 0x0
	.amdhsa_kernel _Z21device_test_warp_maskILj13EEvP10TestStatus
		.amdhsa_group_segment_fixed_size 0
		.amdhsa_private_segment_fixed_size 0
		.amdhsa_kernarg_size 8
		.amdhsa_user_sgpr_count 2
		.amdhsa_user_sgpr_dispatch_ptr 0
		.amdhsa_user_sgpr_queue_ptr 0
		.amdhsa_user_sgpr_kernarg_segment_ptr 1
		.amdhsa_user_sgpr_dispatch_id 0
		.amdhsa_user_sgpr_kernarg_preload_length 0
		.amdhsa_user_sgpr_kernarg_preload_offset 0
		.amdhsa_user_sgpr_private_segment_size 0
		.amdhsa_wavefront_size32 1
		.amdhsa_uses_dynamic_stack 0
		.amdhsa_enable_private_segment 0
		.amdhsa_system_sgpr_workgroup_id_x 1
		.amdhsa_system_sgpr_workgroup_id_y 0
		.amdhsa_system_sgpr_workgroup_id_z 0
		.amdhsa_system_sgpr_workgroup_info 0
		.amdhsa_system_vgpr_workitem_id 0
		.amdhsa_next_free_vgpr 2
		.amdhsa_next_free_sgpr 6
		.amdhsa_named_barrier_count 0
		.amdhsa_reserve_vcc 1
		.amdhsa_float_round_mode_32 0
		.amdhsa_float_round_mode_16_64 0
		.amdhsa_float_denorm_mode_32 3
		.amdhsa_float_denorm_mode_16_64 3
		.amdhsa_fp16_overflow 0
		.amdhsa_memory_ordered 1
		.amdhsa_forward_progress 1
		.amdhsa_inst_pref_size 1
		.amdhsa_round_robin_scheduling 0
		.amdhsa_exception_fp_ieee_invalid_op 0
		.amdhsa_exception_fp_denorm_src 0
		.amdhsa_exception_fp_ieee_div_zero 0
		.amdhsa_exception_fp_ieee_overflow 0
		.amdhsa_exception_fp_ieee_underflow 0
		.amdhsa_exception_fp_ieee_inexact 0
		.amdhsa_exception_int_div_zero 0
	.end_amdhsa_kernel
	.section	.text._Z21device_test_warp_maskILj13EEvP10TestStatus,"axG",@progbits,_Z21device_test_warp_maskILj13EEvP10TestStatus,comdat
.Lfunc_end62:
	.size	_Z21device_test_warp_maskILj13EEvP10TestStatus, .Lfunc_end62-_Z21device_test_warp_maskILj13EEvP10TestStatus
                                        ; -- End function
	.set _Z21device_test_warp_maskILj13EEvP10TestStatus.num_vgpr, 2
	.set _Z21device_test_warp_maskILj13EEvP10TestStatus.num_agpr, 0
	.set _Z21device_test_warp_maskILj13EEvP10TestStatus.numbered_sgpr, 6
	.set _Z21device_test_warp_maskILj13EEvP10TestStatus.num_named_barrier, 0
	.set _Z21device_test_warp_maskILj13EEvP10TestStatus.private_seg_size, 0
	.set _Z21device_test_warp_maskILj13EEvP10TestStatus.uses_vcc, 1
	.set _Z21device_test_warp_maskILj13EEvP10TestStatus.uses_flat_scratch, 0
	.set _Z21device_test_warp_maskILj13EEvP10TestStatus.has_dyn_sized_stack, 0
	.set _Z21device_test_warp_maskILj13EEvP10TestStatus.has_recursion, 0
	.set _Z21device_test_warp_maskILj13EEvP10TestStatus.has_indirect_call, 0
	.section	.AMDGPU.csdata,"",@progbits
; Kernel info:
; codeLenInByte = 96
; TotalNumSgprs: 8
; NumVgprs: 2
; ScratchSize: 0
; MemoryBound: 0
; FloatMode: 240
; IeeeMode: 1
; LDSByteSize: 0 bytes/workgroup (compile time only)
; SGPRBlocks: 0
; VGPRBlocks: 0
; NumSGPRsForWavesPerEU: 8
; NumVGPRsForWavesPerEU: 2
; NamedBarCnt: 0
; Occupancy: 16
; WaveLimiterHint : 0
; COMPUTE_PGM_RSRC2:SCRATCH_EN: 0
; COMPUTE_PGM_RSRC2:USER_SGPR: 2
; COMPUTE_PGM_RSRC2:TRAP_HANDLER: 0
; COMPUTE_PGM_RSRC2:TGID_X_EN: 1
; COMPUTE_PGM_RSRC2:TGID_Y_EN: 0
; COMPUTE_PGM_RSRC2:TGID_Z_EN: 0
; COMPUTE_PGM_RSRC2:TIDIG_COMP_CNT: 0
	.section	.text._Z21device_test_warp_maskILj14EEvP10TestStatus,"axG",@progbits,_Z21device_test_warp_maskILj14EEvP10TestStatus,comdat
	.protected	_Z21device_test_warp_maskILj14EEvP10TestStatus ; -- Begin function _Z21device_test_warp_maskILj14EEvP10TestStatus
	.globl	_Z21device_test_warp_maskILj14EEvP10TestStatus
	.p2align	8
	.type	_Z21device_test_warp_maskILj14EEvP10TestStatus,@function
_Z21device_test_warp_maskILj14EEvP10TestStatus: ; @_Z21device_test_warp_maskILj14EEvP10TestStatus
; %bb.0:
	s_mov_b64 s[2:3], 14
.LBB63_1:                               ; =>This Inner Loop Header: Depth=1
	s_delay_alu instid0(SALU_CYCLE_1) | instskip(NEXT) | instid1(SALU_CYCLE_1)
	s_lshl_b64 s[4:5], 1, s2
	s_and_b64 s[4:5], s[4:5], 0x3ffe
	s_delay_alu instid0(SALU_CYCLE_1) | instskip(SKIP_4) | instid1(SALU_CYCLE_1)
	s_cmp_eq_u64 s[4:5], 0
	s_cselect_b32 s4, -1, 0
	s_cmp_lg_u32 s2, 63
	s_add_nc_u64 s[2:3], s[2:3], 1
	s_cselect_b32 s5, -1, 0
	s_and_b32 s5, s4, s5
	s_delay_alu instid0(SALU_CYCLE_1)
	s_and_b32 vcc_lo, exec_lo, s5
	s_cbranch_vccnz .LBB63_1
; %bb.2:
	s_load_b64 s[0:1], s[0:1], 0x0
	v_cndmask_b32_e64 v1, 0, 1, s4
	s_wait_kmcnt 0x0
	global_store_b8 v0, v1, s[0:1]
	s_endpgm
	.section	.rodata,"a",@progbits
	.p2align	6, 0x0
	.amdhsa_kernel _Z21device_test_warp_maskILj14EEvP10TestStatus
		.amdhsa_group_segment_fixed_size 0
		.amdhsa_private_segment_fixed_size 0
		.amdhsa_kernarg_size 8
		.amdhsa_user_sgpr_count 2
		.amdhsa_user_sgpr_dispatch_ptr 0
		.amdhsa_user_sgpr_queue_ptr 0
		.amdhsa_user_sgpr_kernarg_segment_ptr 1
		.amdhsa_user_sgpr_dispatch_id 0
		.amdhsa_user_sgpr_kernarg_preload_length 0
		.amdhsa_user_sgpr_kernarg_preload_offset 0
		.amdhsa_user_sgpr_private_segment_size 0
		.amdhsa_wavefront_size32 1
		.amdhsa_uses_dynamic_stack 0
		.amdhsa_enable_private_segment 0
		.amdhsa_system_sgpr_workgroup_id_x 1
		.amdhsa_system_sgpr_workgroup_id_y 0
		.amdhsa_system_sgpr_workgroup_id_z 0
		.amdhsa_system_sgpr_workgroup_info 0
		.amdhsa_system_vgpr_workitem_id 0
		.amdhsa_next_free_vgpr 2
		.amdhsa_next_free_sgpr 6
		.amdhsa_named_barrier_count 0
		.amdhsa_reserve_vcc 1
		.amdhsa_float_round_mode_32 0
		.amdhsa_float_round_mode_16_64 0
		.amdhsa_float_denorm_mode_32 3
		.amdhsa_float_denorm_mode_16_64 3
		.amdhsa_fp16_overflow 0
		.amdhsa_memory_ordered 1
		.amdhsa_forward_progress 1
		.amdhsa_inst_pref_size 1
		.amdhsa_round_robin_scheduling 0
		.amdhsa_exception_fp_ieee_invalid_op 0
		.amdhsa_exception_fp_denorm_src 0
		.amdhsa_exception_fp_ieee_div_zero 0
		.amdhsa_exception_fp_ieee_overflow 0
		.amdhsa_exception_fp_ieee_underflow 0
		.amdhsa_exception_fp_ieee_inexact 0
		.amdhsa_exception_int_div_zero 0
	.end_amdhsa_kernel
	.section	.text._Z21device_test_warp_maskILj14EEvP10TestStatus,"axG",@progbits,_Z21device_test_warp_maskILj14EEvP10TestStatus,comdat
.Lfunc_end63:
	.size	_Z21device_test_warp_maskILj14EEvP10TestStatus, .Lfunc_end63-_Z21device_test_warp_maskILj14EEvP10TestStatus
                                        ; -- End function
	.set _Z21device_test_warp_maskILj14EEvP10TestStatus.num_vgpr, 2
	.set _Z21device_test_warp_maskILj14EEvP10TestStatus.num_agpr, 0
	.set _Z21device_test_warp_maskILj14EEvP10TestStatus.numbered_sgpr, 6
	.set _Z21device_test_warp_maskILj14EEvP10TestStatus.num_named_barrier, 0
	.set _Z21device_test_warp_maskILj14EEvP10TestStatus.private_seg_size, 0
	.set _Z21device_test_warp_maskILj14EEvP10TestStatus.uses_vcc, 1
	.set _Z21device_test_warp_maskILj14EEvP10TestStatus.uses_flat_scratch, 0
	.set _Z21device_test_warp_maskILj14EEvP10TestStatus.has_dyn_sized_stack, 0
	.set _Z21device_test_warp_maskILj14EEvP10TestStatus.has_recursion, 0
	.set _Z21device_test_warp_maskILj14EEvP10TestStatus.has_indirect_call, 0
	.section	.AMDGPU.csdata,"",@progbits
; Kernel info:
; codeLenInByte = 96
; TotalNumSgprs: 8
; NumVgprs: 2
; ScratchSize: 0
; MemoryBound: 0
; FloatMode: 240
; IeeeMode: 1
; LDSByteSize: 0 bytes/workgroup (compile time only)
; SGPRBlocks: 0
; VGPRBlocks: 0
; NumSGPRsForWavesPerEU: 8
; NumVGPRsForWavesPerEU: 2
; NamedBarCnt: 0
; Occupancy: 16
; WaveLimiterHint : 0
; COMPUTE_PGM_RSRC2:SCRATCH_EN: 0
; COMPUTE_PGM_RSRC2:USER_SGPR: 2
; COMPUTE_PGM_RSRC2:TRAP_HANDLER: 0
; COMPUTE_PGM_RSRC2:TGID_X_EN: 1
; COMPUTE_PGM_RSRC2:TGID_Y_EN: 0
; COMPUTE_PGM_RSRC2:TGID_Z_EN: 0
; COMPUTE_PGM_RSRC2:TIDIG_COMP_CNT: 0
	.section	.text._Z21device_test_warp_maskILj15EEvP10TestStatus,"axG",@progbits,_Z21device_test_warp_maskILj15EEvP10TestStatus,comdat
	.protected	_Z21device_test_warp_maskILj15EEvP10TestStatus ; -- Begin function _Z21device_test_warp_maskILj15EEvP10TestStatus
	.globl	_Z21device_test_warp_maskILj15EEvP10TestStatus
	.p2align	8
	.type	_Z21device_test_warp_maskILj15EEvP10TestStatus,@function
_Z21device_test_warp_maskILj15EEvP10TestStatus: ; @_Z21device_test_warp_maskILj15EEvP10TestStatus
; %bb.0:
	s_mov_b64 s[2:3], 15
.LBB64_1:                               ; =>This Inner Loop Header: Depth=1
	s_delay_alu instid0(SALU_CYCLE_1) | instskip(NEXT) | instid1(SALU_CYCLE_1)
	s_lshl_b64 s[4:5], 1, s2
	s_and_b64 s[4:5], s[4:5], 0x7ffe
	s_delay_alu instid0(SALU_CYCLE_1) | instskip(SKIP_4) | instid1(SALU_CYCLE_1)
	s_cmp_eq_u64 s[4:5], 0
	s_cselect_b32 s4, -1, 0
	s_cmp_lg_u32 s2, 63
	s_add_nc_u64 s[2:3], s[2:3], 1
	s_cselect_b32 s5, -1, 0
	s_and_b32 s5, s4, s5
	s_delay_alu instid0(SALU_CYCLE_1)
	s_and_b32 vcc_lo, exec_lo, s5
	s_cbranch_vccnz .LBB64_1
; %bb.2:
	s_load_b64 s[0:1], s[0:1], 0x0
	v_cndmask_b32_e64 v1, 0, 1, s4
	s_wait_kmcnt 0x0
	global_store_b8 v0, v1, s[0:1]
	s_endpgm
	.section	.rodata,"a",@progbits
	.p2align	6, 0x0
	.amdhsa_kernel _Z21device_test_warp_maskILj15EEvP10TestStatus
		.amdhsa_group_segment_fixed_size 0
		.amdhsa_private_segment_fixed_size 0
		.amdhsa_kernarg_size 8
		.amdhsa_user_sgpr_count 2
		.amdhsa_user_sgpr_dispatch_ptr 0
		.amdhsa_user_sgpr_queue_ptr 0
		.amdhsa_user_sgpr_kernarg_segment_ptr 1
		.amdhsa_user_sgpr_dispatch_id 0
		.amdhsa_user_sgpr_kernarg_preload_length 0
		.amdhsa_user_sgpr_kernarg_preload_offset 0
		.amdhsa_user_sgpr_private_segment_size 0
		.amdhsa_wavefront_size32 1
		.amdhsa_uses_dynamic_stack 0
		.amdhsa_enable_private_segment 0
		.amdhsa_system_sgpr_workgroup_id_x 1
		.amdhsa_system_sgpr_workgroup_id_y 0
		.amdhsa_system_sgpr_workgroup_id_z 0
		.amdhsa_system_sgpr_workgroup_info 0
		.amdhsa_system_vgpr_workitem_id 0
		.amdhsa_next_free_vgpr 2
		.amdhsa_next_free_sgpr 6
		.amdhsa_named_barrier_count 0
		.amdhsa_reserve_vcc 1
		.amdhsa_float_round_mode_32 0
		.amdhsa_float_round_mode_16_64 0
		.amdhsa_float_denorm_mode_32 3
		.amdhsa_float_denorm_mode_16_64 3
		.amdhsa_fp16_overflow 0
		.amdhsa_memory_ordered 1
		.amdhsa_forward_progress 1
		.amdhsa_inst_pref_size 1
		.amdhsa_round_robin_scheduling 0
		.amdhsa_exception_fp_ieee_invalid_op 0
		.amdhsa_exception_fp_denorm_src 0
		.amdhsa_exception_fp_ieee_div_zero 0
		.amdhsa_exception_fp_ieee_overflow 0
		.amdhsa_exception_fp_ieee_underflow 0
		.amdhsa_exception_fp_ieee_inexact 0
		.amdhsa_exception_int_div_zero 0
	.end_amdhsa_kernel
	.section	.text._Z21device_test_warp_maskILj15EEvP10TestStatus,"axG",@progbits,_Z21device_test_warp_maskILj15EEvP10TestStatus,comdat
.Lfunc_end64:
	.size	_Z21device_test_warp_maskILj15EEvP10TestStatus, .Lfunc_end64-_Z21device_test_warp_maskILj15EEvP10TestStatus
                                        ; -- End function
	.set _Z21device_test_warp_maskILj15EEvP10TestStatus.num_vgpr, 2
	.set _Z21device_test_warp_maskILj15EEvP10TestStatus.num_agpr, 0
	.set _Z21device_test_warp_maskILj15EEvP10TestStatus.numbered_sgpr, 6
	.set _Z21device_test_warp_maskILj15EEvP10TestStatus.num_named_barrier, 0
	.set _Z21device_test_warp_maskILj15EEvP10TestStatus.private_seg_size, 0
	.set _Z21device_test_warp_maskILj15EEvP10TestStatus.uses_vcc, 1
	.set _Z21device_test_warp_maskILj15EEvP10TestStatus.uses_flat_scratch, 0
	.set _Z21device_test_warp_maskILj15EEvP10TestStatus.has_dyn_sized_stack, 0
	.set _Z21device_test_warp_maskILj15EEvP10TestStatus.has_recursion, 0
	.set _Z21device_test_warp_maskILj15EEvP10TestStatus.has_indirect_call, 0
	.section	.AMDGPU.csdata,"",@progbits
; Kernel info:
; codeLenInByte = 96
; TotalNumSgprs: 8
; NumVgprs: 2
; ScratchSize: 0
; MemoryBound: 0
; FloatMode: 240
; IeeeMode: 1
; LDSByteSize: 0 bytes/workgroup (compile time only)
; SGPRBlocks: 0
; VGPRBlocks: 0
; NumSGPRsForWavesPerEU: 8
; NumVGPRsForWavesPerEU: 2
; NamedBarCnt: 0
; Occupancy: 16
; WaveLimiterHint : 0
; COMPUTE_PGM_RSRC2:SCRATCH_EN: 0
; COMPUTE_PGM_RSRC2:USER_SGPR: 2
; COMPUTE_PGM_RSRC2:TRAP_HANDLER: 0
; COMPUTE_PGM_RSRC2:TGID_X_EN: 1
; COMPUTE_PGM_RSRC2:TGID_Y_EN: 0
; COMPUTE_PGM_RSRC2:TGID_Z_EN: 0
; COMPUTE_PGM_RSRC2:TIDIG_COMP_CNT: 0
	.section	.text._Z21device_test_warp_maskILj16EEvP10TestStatus,"axG",@progbits,_Z21device_test_warp_maskILj16EEvP10TestStatus,comdat
	.protected	_Z21device_test_warp_maskILj16EEvP10TestStatus ; -- Begin function _Z21device_test_warp_maskILj16EEvP10TestStatus
	.globl	_Z21device_test_warp_maskILj16EEvP10TestStatus
	.p2align	8
	.type	_Z21device_test_warp_maskILj16EEvP10TestStatus,@function
_Z21device_test_warp_maskILj16EEvP10TestStatus: ; @_Z21device_test_warp_maskILj16EEvP10TestStatus
; %bb.0:
	v_mbcnt_lo_u32_b32 v10, -1, 0
	s_mov_b32 s5, 0
	s_mov_b32 s2, -1
	s_mov_b32 s4, exec_lo
	s_delay_alu instid0(VALU_DEP_1) | instskip(NEXT) | instid1(VALU_DEP_1)
	v_and_b32_e32 v1, 16, v10
	v_lshlrev_b64_e64 v[8:9], v1, 0xffff
	v_cmpx_ne_u32_e32 0, v1
	s_cbranch_execnz .LBB65_3
; %bb.1:
	s_or_b32 exec_lo, exec_lo, s4
	v_mov_b32_e32 v2, 0
	s_and_saveexec_b32 s4, s2
	s_cbranch_execnz .LBB65_6
.LBB65_2:
	s_or_b32 exec_lo, exec_lo, s4
	s_load_b64 s[0:1], s[0:1], 0x0
	s_wait_kmcnt 0x0
	global_store_b8 v0, v2, s[0:1]
	s_endpgm
.LBB65_3:
	s_delay_alu instid0(VALU_DEP_2)
	v_dual_mov_b32 v2, v8 :: v_dual_mov_b32 v3, v9
	v_dual_mov_b32 v4, v8 :: v_dual_mov_b32 v5, v9
	;; [unrolled: 1-line block ×3, first 2 shown]
	v_add_nc_u32_e32 v11, -4, v1
	s_mov_b32 s6, 3
	s_mov_b32 s7, 2
	;; [unrolled: 1-line block ×4, first 2 shown]
                                        ; implicit-def: $sgpr10
.LBB65_4:                               ; =>This Inner Loop Header: Depth=1
	s_lshl_b64 s[2:3], 1, s8
	s_lshl_b64 s[16:17], 1, s7
	v_and_b32_e32 v15, s3, v3
	v_and_b32_e32 v14, s2, v2
	;; [unrolled: 1-line block ×4, first 2 shown]
	s_lshl_b64 s[14:15], 1, s6
	s_lshl_b64 s[12:13], 1, s9
	v_cmp_ne_u64_e32 vcc_lo, 0, v[14:15]
	v_and_b32_e32 v13, s15, v7
	v_and_b32_e32 v12, s14, v6
	;; [unrolled: 1-line block ×4, first 2 shown]
	s_add_co_i32 s9, s9, 4
	s_add_co_i32 s8, s8, 4
	v_cndmask_b32_e64 v14, 0, 1, vcc_lo
	v_cmp_ne_u64_e32 vcc_lo, 0, v[16:17]
	s_add_co_i32 s7, s7, 4
	s_add_co_i32 s6, s6, 4
	s_delay_alu instid0(VALU_DEP_2) | instskip(SKIP_2) | instid1(VALU_DEP_2)
	v_lshlrev_b16 v14, 1, v14
	v_cndmask_b32_e64 v15, 0, 1, vcc_lo
	v_cmp_ne_u64_e32 vcc_lo, 0, v[12:13]
	v_lshlrev_b16 v15, 2, v15
	v_cndmask_b32_e64 v12, 0, 1, vcc_lo
	v_cmp_ne_u64_e32 vcc_lo, 0, v[18:19]
	s_delay_alu instid0(VALU_DEP_2) | instskip(SKIP_2) | instid1(VALU_DEP_3)
	v_lshlrev_b16 v12, 3, v12
	v_cndmask_b32_e64 v13, 0, 1, vcc_lo
	v_cmp_eq_u32_e32 vcc_lo, 0, v11
	v_or_b32_e32 v12, v12, v15
	v_add_nc_u32_e32 v11, -4, v11
	s_delay_alu instid0(VALU_DEP_4) | instskip(NEXT) | instid1(VALU_DEP_1)
	v_bitop3_b16 v13, v13, 3, v14 bitop3:0xc8
	v_bitop3_b16 v12, v13, 15, v12 bitop3:0xc8
	s_delay_alu instid0(VALU_DEP_1) | instskip(SKIP_2) | instid1(SALU_CYCLE_1)
	v_cmp_ne_u16_e64 s2, 0, v12
	v_cmp_eq_u16_e64 s3, 0, v12
	s_or_b32 s2, s2, vcc_lo
	s_and_b32 s2, exec_lo, s2
	s_delay_alu instid0(SALU_CYCLE_1) | instskip(SKIP_2) | instid1(SALU_CYCLE_1)
	s_or_b32 s5, s2, s5
	s_and_not1_b32 s2, s10, exec_lo
	s_and_b32 s3, s3, exec_lo
	s_or_b32 s10, s2, s3
	s_and_not1_b32 exec_lo, exec_lo, s5
	s_cbranch_execnz .LBB65_4
; %bb.5:
	s_or_b32 exec_lo, exec_lo, s5
	s_delay_alu instid0(SALU_CYCLE_1)
	s_or_not1_b32 s2, s10, exec_lo
	s_or_b32 exec_lo, exec_lo, s4
	v_mov_b32_e32 v2, 0
	s_and_saveexec_b32 s4, s2
	s_cbranch_execz .LBB65_2
.LBB65_6:
	s_mov_b32 s3, -1
	s_mov_b32 s2, exec_lo
	v_cmpx_gt_u32_e32 -16, v10
	s_cbranch_execz .LBB65_36
; %bb.7:
	v_or_b32_e32 v2, 1, v1
	s_mov_b32 s5, 0
	s_mov_b32 s3, exec_lo
	s_delay_alu instid0(VALU_DEP_1) | instskip(NEXT) | instid1(VALU_DEP_1)
	v_lshrrev_b32_e32 v2, v2, v8
	v_and_b32_e32 v2, 1, v2
	s_delay_alu instid0(VALU_DEP_1)
	v_cmpx_eq_u32_e32 1, v2
	s_cbranch_execz .LBB65_35
; %bb.8:
	v_or_b32_e32 v2, 2, v1
	s_mov_b32 s6, 0
	s_mov_b32 s5, exec_lo
	s_delay_alu instid0(VALU_DEP_1) | instskip(NEXT) | instid1(VALU_DEP_1)
	v_lshrrev_b32_e32 v2, v2, v8
	v_and_b32_e32 v2, 1, v2
	s_delay_alu instid0(VALU_DEP_1)
	v_cmpx_eq_u32_e32 1, v2
	;; [unrolled: 10-line block ×14, first 2 shown]
; %bb.21:
	v_or_b32_e32 v2, 15, v10
	s_delay_alu instid0(VALU_DEP_1) | instskip(NEXT) | instid1(VALU_DEP_1)
	v_lshrrev_b32_e32 v2, v2, v8
	v_and_b32_e32 v2, 1, v2
	s_delay_alu instid0(VALU_DEP_1)
	v_cmp_eq_u32_e32 vcc_lo, 1, v2
	s_and_b32 s18, vcc_lo, exec_lo
; %bb.22:
	s_or_b32 exec_lo, exec_lo, s17
	s_delay_alu instid0(SALU_CYCLE_1)
	s_and_b32 s17, s18, exec_lo
.LBB65_23:
	s_or_b32 exec_lo, exec_lo, s16
	s_delay_alu instid0(SALU_CYCLE_1)
	s_and_b32 s16, s17, exec_lo
.LBB65_24:
	s_or_b32 exec_lo, exec_lo, s15
	s_delay_alu instid0(SALU_CYCLE_1)
	s_and_b32 s15, s16, exec_lo
.LBB65_25:
	s_or_b32 exec_lo, exec_lo, s14
	s_delay_alu instid0(SALU_CYCLE_1)
	s_and_b32 s14, s15, exec_lo
.LBB65_26:
	s_or_b32 exec_lo, exec_lo, s13
	s_delay_alu instid0(SALU_CYCLE_1)
	s_and_b32 s13, s14, exec_lo
.LBB65_27:
	s_or_b32 exec_lo, exec_lo, s12
	s_delay_alu instid0(SALU_CYCLE_1)
	s_and_b32 s12, s13, exec_lo
.LBB65_28:
	s_or_b32 exec_lo, exec_lo, s11
	s_delay_alu instid0(SALU_CYCLE_1)
	s_and_b32 s11, s12, exec_lo
.LBB65_29:
	s_or_b32 exec_lo, exec_lo, s10
	s_delay_alu instid0(SALU_CYCLE_1)
	s_and_b32 s10, s11, exec_lo
.LBB65_30:
	s_or_b32 exec_lo, exec_lo, s9
	s_delay_alu instid0(SALU_CYCLE_1)
	s_and_b32 s9, s10, exec_lo
.LBB65_31:
	s_or_b32 exec_lo, exec_lo, s8
	s_delay_alu instid0(SALU_CYCLE_1)
	s_and_b32 s8, s9, exec_lo
.LBB65_32:
	s_or_b32 exec_lo, exec_lo, s7
	s_delay_alu instid0(SALU_CYCLE_1)
	s_and_b32 s7, s8, exec_lo
.LBB65_33:
	s_or_b32 exec_lo, exec_lo, s6
	s_delay_alu instid0(SALU_CYCLE_1)
	s_and_b32 s6, s7, exec_lo
.LBB65_34:
	s_or_b32 exec_lo, exec_lo, s5
	s_delay_alu instid0(SALU_CYCLE_1)
	s_and_b32 s5, s6, exec_lo
.LBB65_35:
	s_or_b32 exec_lo, exec_lo, s3
	s_delay_alu instid0(SALU_CYCLE_1)
	s_or_not1_b32 s3, s5, exec_lo
.LBB65_36:
	s_or_b32 exec_lo, exec_lo, s2
	v_mov_b32_e32 v2, 0
	s_and_saveexec_b32 s5, s3
	s_cbranch_execz .LBB65_42
; %bb.37:
	v_add_nc_u32_e32 v2, 16, v1
	s_mov_b32 s2, -1
	s_mov_b32 s6, exec_lo
	s_delay_alu instid0(VALU_DEP_1)
	v_cmpx_gt_u32_e32 64, v2
	s_cbranch_execz .LBB65_41
; %bb.38:
	v_mov_b32_e32 v3, 0
	s_mov_b32 s7, 0
                                        ; implicit-def: $sgpr8
.LBB65_39:                              ; =>This Inner Loop Header: Depth=1
	v_lshlrev_b64_e64 v[4:5], v2, 1
	v_cmp_lt_u32_e64 s2, 62, v2
	s_delay_alu instid0(VALU_DEP_3) | instskip(NEXT) | instid1(VALU_DEP_3)
	v_add_nc_u64_e32 v[2:3], 1, v[2:3]
	v_and_b32_e32 v5, v5, v9
	s_delay_alu instid0(VALU_DEP_4) | instskip(NEXT) | instid1(VALU_DEP_1)
	v_and_b32_e32 v4, v4, v8
	v_cmp_ne_u64_e32 vcc_lo, 0, v[4:5]
	v_cmp_eq_u64_e64 s3, 0, v[4:5]
	s_or_b32 s2, s2, vcc_lo
	s_delay_alu instid0(SALU_CYCLE_1) | instskip(NEXT) | instid1(SALU_CYCLE_1)
	s_and_b32 s2, exec_lo, s2
	s_or_b32 s7, s2, s7
	s_and_not1_b32 s2, s8, exec_lo
	s_and_b32 s3, s3, exec_lo
	s_delay_alu instid0(SALU_CYCLE_1)
	s_or_b32 s8, s2, s3
	s_and_not1_b32 exec_lo, exec_lo, s7
	s_cbranch_execnz .LBB65_39
; %bb.40:
	s_or_b32 exec_lo, exec_lo, s7
	s_delay_alu instid0(SALU_CYCLE_1)
	s_or_not1_b32 s2, s8, exec_lo
.LBB65_41:
	s_or_b32 exec_lo, exec_lo, s6
	v_cndmask_b32_e64 v2, 0, 1, s2
.LBB65_42:
	s_or_b32 exec_lo, exec_lo, s5
	s_delay_alu instid0(SALU_CYCLE_1)
	s_or_b32 exec_lo, exec_lo, s4
	s_load_b64 s[0:1], s[0:1], 0x0
	s_wait_kmcnt 0x0
	global_store_b8 v0, v2, s[0:1]
	s_endpgm
	.section	.rodata,"a",@progbits
	.p2align	6, 0x0
	.amdhsa_kernel _Z21device_test_warp_maskILj16EEvP10TestStatus
		.amdhsa_group_segment_fixed_size 0
		.amdhsa_private_segment_fixed_size 0
		.amdhsa_kernarg_size 8
		.amdhsa_user_sgpr_count 2
		.amdhsa_user_sgpr_dispatch_ptr 0
		.amdhsa_user_sgpr_queue_ptr 0
		.amdhsa_user_sgpr_kernarg_segment_ptr 1
		.amdhsa_user_sgpr_dispatch_id 0
		.amdhsa_user_sgpr_kernarg_preload_length 0
		.amdhsa_user_sgpr_kernarg_preload_offset 0
		.amdhsa_user_sgpr_private_segment_size 0
		.amdhsa_wavefront_size32 1
		.amdhsa_uses_dynamic_stack 0
		.amdhsa_enable_private_segment 0
		.amdhsa_system_sgpr_workgroup_id_x 1
		.amdhsa_system_sgpr_workgroup_id_y 0
		.amdhsa_system_sgpr_workgroup_id_z 0
		.amdhsa_system_sgpr_workgroup_info 0
		.amdhsa_system_vgpr_workitem_id 0
		.amdhsa_next_free_vgpr 20
		.amdhsa_next_free_sgpr 19
		.amdhsa_named_barrier_count 0
		.amdhsa_reserve_vcc 1
		.amdhsa_float_round_mode_32 0
		.amdhsa_float_round_mode_16_64 0
		.amdhsa_float_denorm_mode_32 3
		.amdhsa_float_denorm_mode_16_64 3
		.amdhsa_fp16_overflow 0
		.amdhsa_memory_ordered 1
		.amdhsa_forward_progress 1
		.amdhsa_inst_pref_size 11
		.amdhsa_round_robin_scheduling 0
		.amdhsa_exception_fp_ieee_invalid_op 0
		.amdhsa_exception_fp_denorm_src 0
		.amdhsa_exception_fp_ieee_div_zero 0
		.amdhsa_exception_fp_ieee_overflow 0
		.amdhsa_exception_fp_ieee_underflow 0
		.amdhsa_exception_fp_ieee_inexact 0
		.amdhsa_exception_int_div_zero 0
	.end_amdhsa_kernel
	.section	.text._Z21device_test_warp_maskILj16EEvP10TestStatus,"axG",@progbits,_Z21device_test_warp_maskILj16EEvP10TestStatus,comdat
.Lfunc_end65:
	.size	_Z21device_test_warp_maskILj16EEvP10TestStatus, .Lfunc_end65-_Z21device_test_warp_maskILj16EEvP10TestStatus
                                        ; -- End function
	.set _Z21device_test_warp_maskILj16EEvP10TestStatus.num_vgpr, 20
	.set _Z21device_test_warp_maskILj16EEvP10TestStatus.num_agpr, 0
	.set _Z21device_test_warp_maskILj16EEvP10TestStatus.numbered_sgpr, 19
	.set _Z21device_test_warp_maskILj16EEvP10TestStatus.num_named_barrier, 0
	.set _Z21device_test_warp_maskILj16EEvP10TestStatus.private_seg_size, 0
	.set _Z21device_test_warp_maskILj16EEvP10TestStatus.uses_vcc, 1
	.set _Z21device_test_warp_maskILj16EEvP10TestStatus.uses_flat_scratch, 0
	.set _Z21device_test_warp_maskILj16EEvP10TestStatus.has_dyn_sized_stack, 0
	.set _Z21device_test_warp_maskILj16EEvP10TestStatus.has_recursion, 0
	.set _Z21device_test_warp_maskILj16EEvP10TestStatus.has_indirect_call, 0
	.section	.AMDGPU.csdata,"",@progbits
; Kernel info:
; codeLenInByte = 1316
; TotalNumSgprs: 21
; NumVgprs: 20
; ScratchSize: 0
; MemoryBound: 0
; FloatMode: 240
; IeeeMode: 1
; LDSByteSize: 0 bytes/workgroup (compile time only)
; SGPRBlocks: 0
; VGPRBlocks: 1
; NumSGPRsForWavesPerEU: 21
; NumVGPRsForWavesPerEU: 20
; NamedBarCnt: 0
; Occupancy: 16
; WaveLimiterHint : 0
; COMPUTE_PGM_RSRC2:SCRATCH_EN: 0
; COMPUTE_PGM_RSRC2:USER_SGPR: 2
; COMPUTE_PGM_RSRC2:TRAP_HANDLER: 0
; COMPUTE_PGM_RSRC2:TGID_X_EN: 1
; COMPUTE_PGM_RSRC2:TGID_Y_EN: 0
; COMPUTE_PGM_RSRC2:TGID_Z_EN: 0
; COMPUTE_PGM_RSRC2:TIDIG_COMP_CNT: 0
	.section	.text._Z21device_test_warp_maskILj17EEvP10TestStatus,"axG",@progbits,_Z21device_test_warp_maskILj17EEvP10TestStatus,comdat
	.protected	_Z21device_test_warp_maskILj17EEvP10TestStatus ; -- Begin function _Z21device_test_warp_maskILj17EEvP10TestStatus
	.globl	_Z21device_test_warp_maskILj17EEvP10TestStatus
	.p2align	8
	.type	_Z21device_test_warp_maskILj17EEvP10TestStatus,@function
_Z21device_test_warp_maskILj17EEvP10TestStatus: ; @_Z21device_test_warp_maskILj17EEvP10TestStatus
; %bb.0:
	s_mov_b64 s[2:3], 17
.LBB66_1:                               ; =>This Inner Loop Header: Depth=1
	s_delay_alu instid0(SALU_CYCLE_1) | instskip(NEXT) | instid1(SALU_CYCLE_1)
	s_lshl_b64 s[4:5], 1, s2
	s_and_b64 s[4:5], s[4:5], 0x1fffe
	s_delay_alu instid0(SALU_CYCLE_1) | instskip(SKIP_4) | instid1(SALU_CYCLE_1)
	s_cmp_eq_u64 s[4:5], 0
	s_cselect_b32 s4, -1, 0
	s_cmp_lg_u32 s2, 63
	s_add_nc_u64 s[2:3], s[2:3], 1
	s_cselect_b32 s5, -1, 0
	s_and_b32 s5, s4, s5
	s_delay_alu instid0(SALU_CYCLE_1)
	s_and_b32 vcc_lo, exec_lo, s5
	s_cbranch_vccnz .LBB66_1
; %bb.2:
	s_load_b64 s[0:1], s[0:1], 0x0
	v_cndmask_b32_e64 v1, 0, 1, s4
	s_wait_kmcnt 0x0
	global_store_b8 v0, v1, s[0:1]
	s_endpgm
	.section	.rodata,"a",@progbits
	.p2align	6, 0x0
	.amdhsa_kernel _Z21device_test_warp_maskILj17EEvP10TestStatus
		.amdhsa_group_segment_fixed_size 0
		.amdhsa_private_segment_fixed_size 0
		.amdhsa_kernarg_size 8
		.amdhsa_user_sgpr_count 2
		.amdhsa_user_sgpr_dispatch_ptr 0
		.amdhsa_user_sgpr_queue_ptr 0
		.amdhsa_user_sgpr_kernarg_segment_ptr 1
		.amdhsa_user_sgpr_dispatch_id 0
		.amdhsa_user_sgpr_kernarg_preload_length 0
		.amdhsa_user_sgpr_kernarg_preload_offset 0
		.amdhsa_user_sgpr_private_segment_size 0
		.amdhsa_wavefront_size32 1
		.amdhsa_uses_dynamic_stack 0
		.amdhsa_enable_private_segment 0
		.amdhsa_system_sgpr_workgroup_id_x 1
		.amdhsa_system_sgpr_workgroup_id_y 0
		.amdhsa_system_sgpr_workgroup_id_z 0
		.amdhsa_system_sgpr_workgroup_info 0
		.amdhsa_system_vgpr_workitem_id 0
		.amdhsa_next_free_vgpr 2
		.amdhsa_next_free_sgpr 6
		.amdhsa_named_barrier_count 0
		.amdhsa_reserve_vcc 1
		.amdhsa_float_round_mode_32 0
		.amdhsa_float_round_mode_16_64 0
		.amdhsa_float_denorm_mode_32 3
		.amdhsa_float_denorm_mode_16_64 3
		.amdhsa_fp16_overflow 0
		.amdhsa_memory_ordered 1
		.amdhsa_forward_progress 1
		.amdhsa_inst_pref_size 1
		.amdhsa_round_robin_scheduling 0
		.amdhsa_exception_fp_ieee_invalid_op 0
		.amdhsa_exception_fp_denorm_src 0
		.amdhsa_exception_fp_ieee_div_zero 0
		.amdhsa_exception_fp_ieee_overflow 0
		.amdhsa_exception_fp_ieee_underflow 0
		.amdhsa_exception_fp_ieee_inexact 0
		.amdhsa_exception_int_div_zero 0
	.end_amdhsa_kernel
	.section	.text._Z21device_test_warp_maskILj17EEvP10TestStatus,"axG",@progbits,_Z21device_test_warp_maskILj17EEvP10TestStatus,comdat
.Lfunc_end66:
	.size	_Z21device_test_warp_maskILj17EEvP10TestStatus, .Lfunc_end66-_Z21device_test_warp_maskILj17EEvP10TestStatus
                                        ; -- End function
	.set _Z21device_test_warp_maskILj17EEvP10TestStatus.num_vgpr, 2
	.set _Z21device_test_warp_maskILj17EEvP10TestStatus.num_agpr, 0
	.set _Z21device_test_warp_maskILj17EEvP10TestStatus.numbered_sgpr, 6
	.set _Z21device_test_warp_maskILj17EEvP10TestStatus.num_named_barrier, 0
	.set _Z21device_test_warp_maskILj17EEvP10TestStatus.private_seg_size, 0
	.set _Z21device_test_warp_maskILj17EEvP10TestStatus.uses_vcc, 1
	.set _Z21device_test_warp_maskILj17EEvP10TestStatus.uses_flat_scratch, 0
	.set _Z21device_test_warp_maskILj17EEvP10TestStatus.has_dyn_sized_stack, 0
	.set _Z21device_test_warp_maskILj17EEvP10TestStatus.has_recursion, 0
	.set _Z21device_test_warp_maskILj17EEvP10TestStatus.has_indirect_call, 0
	.section	.AMDGPU.csdata,"",@progbits
; Kernel info:
; codeLenInByte = 96
; TotalNumSgprs: 8
; NumVgprs: 2
; ScratchSize: 0
; MemoryBound: 0
; FloatMode: 240
; IeeeMode: 1
; LDSByteSize: 0 bytes/workgroup (compile time only)
; SGPRBlocks: 0
; VGPRBlocks: 0
; NumSGPRsForWavesPerEU: 8
; NumVGPRsForWavesPerEU: 2
; NamedBarCnt: 0
; Occupancy: 16
; WaveLimiterHint : 0
; COMPUTE_PGM_RSRC2:SCRATCH_EN: 0
; COMPUTE_PGM_RSRC2:USER_SGPR: 2
; COMPUTE_PGM_RSRC2:TRAP_HANDLER: 0
; COMPUTE_PGM_RSRC2:TGID_X_EN: 1
; COMPUTE_PGM_RSRC2:TGID_Y_EN: 0
; COMPUTE_PGM_RSRC2:TGID_Z_EN: 0
; COMPUTE_PGM_RSRC2:TIDIG_COMP_CNT: 0
	.section	.text._Z21device_test_warp_maskILj18EEvP10TestStatus,"axG",@progbits,_Z21device_test_warp_maskILj18EEvP10TestStatus,comdat
	.protected	_Z21device_test_warp_maskILj18EEvP10TestStatus ; -- Begin function _Z21device_test_warp_maskILj18EEvP10TestStatus
	.globl	_Z21device_test_warp_maskILj18EEvP10TestStatus
	.p2align	8
	.type	_Z21device_test_warp_maskILj18EEvP10TestStatus,@function
_Z21device_test_warp_maskILj18EEvP10TestStatus: ; @_Z21device_test_warp_maskILj18EEvP10TestStatus
; %bb.0:
	s_mov_b64 s[2:3], 18
.LBB67_1:                               ; =>This Inner Loop Header: Depth=1
	s_delay_alu instid0(SALU_CYCLE_1) | instskip(NEXT) | instid1(SALU_CYCLE_1)
	s_lshl_b64 s[4:5], 1, s2
	s_and_b64 s[4:5], s[4:5], 0x3fffe
	s_delay_alu instid0(SALU_CYCLE_1) | instskip(SKIP_4) | instid1(SALU_CYCLE_1)
	s_cmp_eq_u64 s[4:5], 0
	s_cselect_b32 s4, -1, 0
	s_cmp_lg_u32 s2, 63
	s_add_nc_u64 s[2:3], s[2:3], 1
	s_cselect_b32 s5, -1, 0
	s_and_b32 s5, s4, s5
	s_delay_alu instid0(SALU_CYCLE_1)
	s_and_b32 vcc_lo, exec_lo, s5
	s_cbranch_vccnz .LBB67_1
; %bb.2:
	s_load_b64 s[0:1], s[0:1], 0x0
	v_cndmask_b32_e64 v1, 0, 1, s4
	s_wait_kmcnt 0x0
	global_store_b8 v0, v1, s[0:1]
	s_endpgm
	.section	.rodata,"a",@progbits
	.p2align	6, 0x0
	.amdhsa_kernel _Z21device_test_warp_maskILj18EEvP10TestStatus
		.amdhsa_group_segment_fixed_size 0
		.amdhsa_private_segment_fixed_size 0
		.amdhsa_kernarg_size 8
		.amdhsa_user_sgpr_count 2
		.amdhsa_user_sgpr_dispatch_ptr 0
		.amdhsa_user_sgpr_queue_ptr 0
		.amdhsa_user_sgpr_kernarg_segment_ptr 1
		.amdhsa_user_sgpr_dispatch_id 0
		.amdhsa_user_sgpr_kernarg_preload_length 0
		.amdhsa_user_sgpr_kernarg_preload_offset 0
		.amdhsa_user_sgpr_private_segment_size 0
		.amdhsa_wavefront_size32 1
		.amdhsa_uses_dynamic_stack 0
		.amdhsa_enable_private_segment 0
		.amdhsa_system_sgpr_workgroup_id_x 1
		.amdhsa_system_sgpr_workgroup_id_y 0
		.amdhsa_system_sgpr_workgroup_id_z 0
		.amdhsa_system_sgpr_workgroup_info 0
		.amdhsa_system_vgpr_workitem_id 0
		.amdhsa_next_free_vgpr 2
		.amdhsa_next_free_sgpr 6
		.amdhsa_named_barrier_count 0
		.amdhsa_reserve_vcc 1
		.amdhsa_float_round_mode_32 0
		.amdhsa_float_round_mode_16_64 0
		.amdhsa_float_denorm_mode_32 3
		.amdhsa_float_denorm_mode_16_64 3
		.amdhsa_fp16_overflow 0
		.amdhsa_memory_ordered 1
		.amdhsa_forward_progress 1
		.amdhsa_inst_pref_size 1
		.amdhsa_round_robin_scheduling 0
		.amdhsa_exception_fp_ieee_invalid_op 0
		.amdhsa_exception_fp_denorm_src 0
		.amdhsa_exception_fp_ieee_div_zero 0
		.amdhsa_exception_fp_ieee_overflow 0
		.amdhsa_exception_fp_ieee_underflow 0
		.amdhsa_exception_fp_ieee_inexact 0
		.amdhsa_exception_int_div_zero 0
	.end_amdhsa_kernel
	.section	.text._Z21device_test_warp_maskILj18EEvP10TestStatus,"axG",@progbits,_Z21device_test_warp_maskILj18EEvP10TestStatus,comdat
.Lfunc_end67:
	.size	_Z21device_test_warp_maskILj18EEvP10TestStatus, .Lfunc_end67-_Z21device_test_warp_maskILj18EEvP10TestStatus
                                        ; -- End function
	.set _Z21device_test_warp_maskILj18EEvP10TestStatus.num_vgpr, 2
	.set _Z21device_test_warp_maskILj18EEvP10TestStatus.num_agpr, 0
	.set _Z21device_test_warp_maskILj18EEvP10TestStatus.numbered_sgpr, 6
	.set _Z21device_test_warp_maskILj18EEvP10TestStatus.num_named_barrier, 0
	.set _Z21device_test_warp_maskILj18EEvP10TestStatus.private_seg_size, 0
	.set _Z21device_test_warp_maskILj18EEvP10TestStatus.uses_vcc, 1
	.set _Z21device_test_warp_maskILj18EEvP10TestStatus.uses_flat_scratch, 0
	.set _Z21device_test_warp_maskILj18EEvP10TestStatus.has_dyn_sized_stack, 0
	.set _Z21device_test_warp_maskILj18EEvP10TestStatus.has_recursion, 0
	.set _Z21device_test_warp_maskILj18EEvP10TestStatus.has_indirect_call, 0
	.section	.AMDGPU.csdata,"",@progbits
; Kernel info:
; codeLenInByte = 96
; TotalNumSgprs: 8
; NumVgprs: 2
; ScratchSize: 0
; MemoryBound: 0
; FloatMode: 240
; IeeeMode: 1
; LDSByteSize: 0 bytes/workgroup (compile time only)
; SGPRBlocks: 0
; VGPRBlocks: 0
; NumSGPRsForWavesPerEU: 8
; NumVGPRsForWavesPerEU: 2
; NamedBarCnt: 0
; Occupancy: 16
; WaveLimiterHint : 0
; COMPUTE_PGM_RSRC2:SCRATCH_EN: 0
; COMPUTE_PGM_RSRC2:USER_SGPR: 2
; COMPUTE_PGM_RSRC2:TRAP_HANDLER: 0
; COMPUTE_PGM_RSRC2:TGID_X_EN: 1
; COMPUTE_PGM_RSRC2:TGID_Y_EN: 0
; COMPUTE_PGM_RSRC2:TGID_Z_EN: 0
; COMPUTE_PGM_RSRC2:TIDIG_COMP_CNT: 0
	.section	.text._Z21device_test_warp_maskILj19EEvP10TestStatus,"axG",@progbits,_Z21device_test_warp_maskILj19EEvP10TestStatus,comdat
	.protected	_Z21device_test_warp_maskILj19EEvP10TestStatus ; -- Begin function _Z21device_test_warp_maskILj19EEvP10TestStatus
	.globl	_Z21device_test_warp_maskILj19EEvP10TestStatus
	.p2align	8
	.type	_Z21device_test_warp_maskILj19EEvP10TestStatus,@function
_Z21device_test_warp_maskILj19EEvP10TestStatus: ; @_Z21device_test_warp_maskILj19EEvP10TestStatus
; %bb.0:
	s_mov_b64 s[2:3], 19
.LBB68_1:                               ; =>This Inner Loop Header: Depth=1
	s_delay_alu instid0(SALU_CYCLE_1) | instskip(NEXT) | instid1(SALU_CYCLE_1)
	s_lshl_b64 s[4:5], 1, s2
	s_and_b64 s[4:5], s[4:5], 0x7fffe
	s_delay_alu instid0(SALU_CYCLE_1) | instskip(SKIP_4) | instid1(SALU_CYCLE_1)
	s_cmp_eq_u64 s[4:5], 0
	s_cselect_b32 s4, -1, 0
	s_cmp_lg_u32 s2, 63
	s_add_nc_u64 s[2:3], s[2:3], 1
	s_cselect_b32 s5, -1, 0
	s_and_b32 s5, s4, s5
	s_delay_alu instid0(SALU_CYCLE_1)
	s_and_b32 vcc_lo, exec_lo, s5
	s_cbranch_vccnz .LBB68_1
; %bb.2:
	s_load_b64 s[0:1], s[0:1], 0x0
	v_cndmask_b32_e64 v1, 0, 1, s4
	s_wait_kmcnt 0x0
	global_store_b8 v0, v1, s[0:1]
	s_endpgm
	.section	.rodata,"a",@progbits
	.p2align	6, 0x0
	.amdhsa_kernel _Z21device_test_warp_maskILj19EEvP10TestStatus
		.amdhsa_group_segment_fixed_size 0
		.amdhsa_private_segment_fixed_size 0
		.amdhsa_kernarg_size 8
		.amdhsa_user_sgpr_count 2
		.amdhsa_user_sgpr_dispatch_ptr 0
		.amdhsa_user_sgpr_queue_ptr 0
		.amdhsa_user_sgpr_kernarg_segment_ptr 1
		.amdhsa_user_sgpr_dispatch_id 0
		.amdhsa_user_sgpr_kernarg_preload_length 0
		.amdhsa_user_sgpr_kernarg_preload_offset 0
		.amdhsa_user_sgpr_private_segment_size 0
		.amdhsa_wavefront_size32 1
		.amdhsa_uses_dynamic_stack 0
		.amdhsa_enable_private_segment 0
		.amdhsa_system_sgpr_workgroup_id_x 1
		.amdhsa_system_sgpr_workgroup_id_y 0
		.amdhsa_system_sgpr_workgroup_id_z 0
		.amdhsa_system_sgpr_workgroup_info 0
		.amdhsa_system_vgpr_workitem_id 0
		.amdhsa_next_free_vgpr 2
		.amdhsa_next_free_sgpr 6
		.amdhsa_named_barrier_count 0
		.amdhsa_reserve_vcc 1
		.amdhsa_float_round_mode_32 0
		.amdhsa_float_round_mode_16_64 0
		.amdhsa_float_denorm_mode_32 3
		.amdhsa_float_denorm_mode_16_64 3
		.amdhsa_fp16_overflow 0
		.amdhsa_memory_ordered 1
		.amdhsa_forward_progress 1
		.amdhsa_inst_pref_size 1
		.amdhsa_round_robin_scheduling 0
		.amdhsa_exception_fp_ieee_invalid_op 0
		.amdhsa_exception_fp_denorm_src 0
		.amdhsa_exception_fp_ieee_div_zero 0
		.amdhsa_exception_fp_ieee_overflow 0
		.amdhsa_exception_fp_ieee_underflow 0
		.amdhsa_exception_fp_ieee_inexact 0
		.amdhsa_exception_int_div_zero 0
	.end_amdhsa_kernel
	.section	.text._Z21device_test_warp_maskILj19EEvP10TestStatus,"axG",@progbits,_Z21device_test_warp_maskILj19EEvP10TestStatus,comdat
.Lfunc_end68:
	.size	_Z21device_test_warp_maskILj19EEvP10TestStatus, .Lfunc_end68-_Z21device_test_warp_maskILj19EEvP10TestStatus
                                        ; -- End function
	.set _Z21device_test_warp_maskILj19EEvP10TestStatus.num_vgpr, 2
	.set _Z21device_test_warp_maskILj19EEvP10TestStatus.num_agpr, 0
	.set _Z21device_test_warp_maskILj19EEvP10TestStatus.numbered_sgpr, 6
	.set _Z21device_test_warp_maskILj19EEvP10TestStatus.num_named_barrier, 0
	.set _Z21device_test_warp_maskILj19EEvP10TestStatus.private_seg_size, 0
	.set _Z21device_test_warp_maskILj19EEvP10TestStatus.uses_vcc, 1
	.set _Z21device_test_warp_maskILj19EEvP10TestStatus.uses_flat_scratch, 0
	.set _Z21device_test_warp_maskILj19EEvP10TestStatus.has_dyn_sized_stack, 0
	.set _Z21device_test_warp_maskILj19EEvP10TestStatus.has_recursion, 0
	.set _Z21device_test_warp_maskILj19EEvP10TestStatus.has_indirect_call, 0
	.section	.AMDGPU.csdata,"",@progbits
; Kernel info:
; codeLenInByte = 96
; TotalNumSgprs: 8
; NumVgprs: 2
; ScratchSize: 0
; MemoryBound: 0
; FloatMode: 240
; IeeeMode: 1
; LDSByteSize: 0 bytes/workgroup (compile time only)
; SGPRBlocks: 0
; VGPRBlocks: 0
; NumSGPRsForWavesPerEU: 8
; NumVGPRsForWavesPerEU: 2
; NamedBarCnt: 0
; Occupancy: 16
; WaveLimiterHint : 0
; COMPUTE_PGM_RSRC2:SCRATCH_EN: 0
; COMPUTE_PGM_RSRC2:USER_SGPR: 2
; COMPUTE_PGM_RSRC2:TRAP_HANDLER: 0
; COMPUTE_PGM_RSRC2:TGID_X_EN: 1
; COMPUTE_PGM_RSRC2:TGID_Y_EN: 0
; COMPUTE_PGM_RSRC2:TGID_Z_EN: 0
; COMPUTE_PGM_RSRC2:TIDIG_COMP_CNT: 0
	.section	.text._Z21device_test_warp_maskILj20EEvP10TestStatus,"axG",@progbits,_Z21device_test_warp_maskILj20EEvP10TestStatus,comdat
	.protected	_Z21device_test_warp_maskILj20EEvP10TestStatus ; -- Begin function _Z21device_test_warp_maskILj20EEvP10TestStatus
	.globl	_Z21device_test_warp_maskILj20EEvP10TestStatus
	.p2align	8
	.type	_Z21device_test_warp_maskILj20EEvP10TestStatus,@function
_Z21device_test_warp_maskILj20EEvP10TestStatus: ; @_Z21device_test_warp_maskILj20EEvP10TestStatus
; %bb.0:
	s_mov_b64 s[2:3], 20
.LBB69_1:                               ; =>This Inner Loop Header: Depth=1
	s_delay_alu instid0(SALU_CYCLE_1) | instskip(NEXT) | instid1(SALU_CYCLE_1)
	s_lshl_b64 s[4:5], 1, s2
	s_and_b64 s[4:5], s[4:5], 0xffffe
	s_delay_alu instid0(SALU_CYCLE_1) | instskip(SKIP_4) | instid1(SALU_CYCLE_1)
	s_cmp_eq_u64 s[4:5], 0
	s_cselect_b32 s4, -1, 0
	s_cmp_lg_u32 s2, 63
	s_add_nc_u64 s[2:3], s[2:3], 1
	s_cselect_b32 s5, -1, 0
	s_and_b32 s5, s4, s5
	s_delay_alu instid0(SALU_CYCLE_1)
	s_and_b32 vcc_lo, exec_lo, s5
	s_cbranch_vccnz .LBB69_1
; %bb.2:
	s_load_b64 s[0:1], s[0:1], 0x0
	v_cndmask_b32_e64 v1, 0, 1, s4
	s_wait_kmcnt 0x0
	global_store_b8 v0, v1, s[0:1]
	s_endpgm
	.section	.rodata,"a",@progbits
	.p2align	6, 0x0
	.amdhsa_kernel _Z21device_test_warp_maskILj20EEvP10TestStatus
		.amdhsa_group_segment_fixed_size 0
		.amdhsa_private_segment_fixed_size 0
		.amdhsa_kernarg_size 8
		.amdhsa_user_sgpr_count 2
		.amdhsa_user_sgpr_dispatch_ptr 0
		.amdhsa_user_sgpr_queue_ptr 0
		.amdhsa_user_sgpr_kernarg_segment_ptr 1
		.amdhsa_user_sgpr_dispatch_id 0
		.amdhsa_user_sgpr_kernarg_preload_length 0
		.amdhsa_user_sgpr_kernarg_preload_offset 0
		.amdhsa_user_sgpr_private_segment_size 0
		.amdhsa_wavefront_size32 1
		.amdhsa_uses_dynamic_stack 0
		.amdhsa_enable_private_segment 0
		.amdhsa_system_sgpr_workgroup_id_x 1
		.amdhsa_system_sgpr_workgroup_id_y 0
		.amdhsa_system_sgpr_workgroup_id_z 0
		.amdhsa_system_sgpr_workgroup_info 0
		.amdhsa_system_vgpr_workitem_id 0
		.amdhsa_next_free_vgpr 2
		.amdhsa_next_free_sgpr 6
		.amdhsa_named_barrier_count 0
		.amdhsa_reserve_vcc 1
		.amdhsa_float_round_mode_32 0
		.amdhsa_float_round_mode_16_64 0
		.amdhsa_float_denorm_mode_32 3
		.amdhsa_float_denorm_mode_16_64 3
		.amdhsa_fp16_overflow 0
		.amdhsa_memory_ordered 1
		.amdhsa_forward_progress 1
		.amdhsa_inst_pref_size 1
		.amdhsa_round_robin_scheduling 0
		.amdhsa_exception_fp_ieee_invalid_op 0
		.amdhsa_exception_fp_denorm_src 0
		.amdhsa_exception_fp_ieee_div_zero 0
		.amdhsa_exception_fp_ieee_overflow 0
		.amdhsa_exception_fp_ieee_underflow 0
		.amdhsa_exception_fp_ieee_inexact 0
		.amdhsa_exception_int_div_zero 0
	.end_amdhsa_kernel
	.section	.text._Z21device_test_warp_maskILj20EEvP10TestStatus,"axG",@progbits,_Z21device_test_warp_maskILj20EEvP10TestStatus,comdat
.Lfunc_end69:
	.size	_Z21device_test_warp_maskILj20EEvP10TestStatus, .Lfunc_end69-_Z21device_test_warp_maskILj20EEvP10TestStatus
                                        ; -- End function
	.set _Z21device_test_warp_maskILj20EEvP10TestStatus.num_vgpr, 2
	.set _Z21device_test_warp_maskILj20EEvP10TestStatus.num_agpr, 0
	.set _Z21device_test_warp_maskILj20EEvP10TestStatus.numbered_sgpr, 6
	.set _Z21device_test_warp_maskILj20EEvP10TestStatus.num_named_barrier, 0
	.set _Z21device_test_warp_maskILj20EEvP10TestStatus.private_seg_size, 0
	.set _Z21device_test_warp_maskILj20EEvP10TestStatus.uses_vcc, 1
	.set _Z21device_test_warp_maskILj20EEvP10TestStatus.uses_flat_scratch, 0
	.set _Z21device_test_warp_maskILj20EEvP10TestStatus.has_dyn_sized_stack, 0
	.set _Z21device_test_warp_maskILj20EEvP10TestStatus.has_recursion, 0
	.set _Z21device_test_warp_maskILj20EEvP10TestStatus.has_indirect_call, 0
	.section	.AMDGPU.csdata,"",@progbits
; Kernel info:
; codeLenInByte = 96
; TotalNumSgprs: 8
; NumVgprs: 2
; ScratchSize: 0
; MemoryBound: 0
; FloatMode: 240
; IeeeMode: 1
; LDSByteSize: 0 bytes/workgroup (compile time only)
; SGPRBlocks: 0
; VGPRBlocks: 0
; NumSGPRsForWavesPerEU: 8
; NumVGPRsForWavesPerEU: 2
; NamedBarCnt: 0
; Occupancy: 16
; WaveLimiterHint : 0
; COMPUTE_PGM_RSRC2:SCRATCH_EN: 0
; COMPUTE_PGM_RSRC2:USER_SGPR: 2
; COMPUTE_PGM_RSRC2:TRAP_HANDLER: 0
; COMPUTE_PGM_RSRC2:TGID_X_EN: 1
; COMPUTE_PGM_RSRC2:TGID_Y_EN: 0
; COMPUTE_PGM_RSRC2:TGID_Z_EN: 0
; COMPUTE_PGM_RSRC2:TIDIG_COMP_CNT: 0
	.section	.text._Z21device_test_warp_maskILj21EEvP10TestStatus,"axG",@progbits,_Z21device_test_warp_maskILj21EEvP10TestStatus,comdat
	.protected	_Z21device_test_warp_maskILj21EEvP10TestStatus ; -- Begin function _Z21device_test_warp_maskILj21EEvP10TestStatus
	.globl	_Z21device_test_warp_maskILj21EEvP10TestStatus
	.p2align	8
	.type	_Z21device_test_warp_maskILj21EEvP10TestStatus,@function
_Z21device_test_warp_maskILj21EEvP10TestStatus: ; @_Z21device_test_warp_maskILj21EEvP10TestStatus
; %bb.0:
	s_mov_b64 s[2:3], 21
.LBB70_1:                               ; =>This Inner Loop Header: Depth=1
	s_delay_alu instid0(SALU_CYCLE_1) | instskip(NEXT) | instid1(SALU_CYCLE_1)
	s_lshl_b64 s[4:5], 1, s2
	s_and_b64 s[4:5], s[4:5], 0x1ffffe
	s_delay_alu instid0(SALU_CYCLE_1) | instskip(SKIP_4) | instid1(SALU_CYCLE_1)
	s_cmp_eq_u64 s[4:5], 0
	s_cselect_b32 s4, -1, 0
	s_cmp_lg_u32 s2, 63
	s_add_nc_u64 s[2:3], s[2:3], 1
	s_cselect_b32 s5, -1, 0
	s_and_b32 s5, s4, s5
	s_delay_alu instid0(SALU_CYCLE_1)
	s_and_b32 vcc_lo, exec_lo, s5
	s_cbranch_vccnz .LBB70_1
; %bb.2:
	s_load_b64 s[0:1], s[0:1], 0x0
	v_cndmask_b32_e64 v1, 0, 1, s4
	s_wait_kmcnt 0x0
	global_store_b8 v0, v1, s[0:1]
	s_endpgm
	.section	.rodata,"a",@progbits
	.p2align	6, 0x0
	.amdhsa_kernel _Z21device_test_warp_maskILj21EEvP10TestStatus
		.amdhsa_group_segment_fixed_size 0
		.amdhsa_private_segment_fixed_size 0
		.amdhsa_kernarg_size 8
		.amdhsa_user_sgpr_count 2
		.amdhsa_user_sgpr_dispatch_ptr 0
		.amdhsa_user_sgpr_queue_ptr 0
		.amdhsa_user_sgpr_kernarg_segment_ptr 1
		.amdhsa_user_sgpr_dispatch_id 0
		.amdhsa_user_sgpr_kernarg_preload_length 0
		.amdhsa_user_sgpr_kernarg_preload_offset 0
		.amdhsa_user_sgpr_private_segment_size 0
		.amdhsa_wavefront_size32 1
		.amdhsa_uses_dynamic_stack 0
		.amdhsa_enable_private_segment 0
		.amdhsa_system_sgpr_workgroup_id_x 1
		.amdhsa_system_sgpr_workgroup_id_y 0
		.amdhsa_system_sgpr_workgroup_id_z 0
		.amdhsa_system_sgpr_workgroup_info 0
		.amdhsa_system_vgpr_workitem_id 0
		.amdhsa_next_free_vgpr 2
		.amdhsa_next_free_sgpr 6
		.amdhsa_named_barrier_count 0
		.amdhsa_reserve_vcc 1
		.amdhsa_float_round_mode_32 0
		.amdhsa_float_round_mode_16_64 0
		.amdhsa_float_denorm_mode_32 3
		.amdhsa_float_denorm_mode_16_64 3
		.amdhsa_fp16_overflow 0
		.amdhsa_memory_ordered 1
		.amdhsa_forward_progress 1
		.amdhsa_inst_pref_size 1
		.amdhsa_round_robin_scheduling 0
		.amdhsa_exception_fp_ieee_invalid_op 0
		.amdhsa_exception_fp_denorm_src 0
		.amdhsa_exception_fp_ieee_div_zero 0
		.amdhsa_exception_fp_ieee_overflow 0
		.amdhsa_exception_fp_ieee_underflow 0
		.amdhsa_exception_fp_ieee_inexact 0
		.amdhsa_exception_int_div_zero 0
	.end_amdhsa_kernel
	.section	.text._Z21device_test_warp_maskILj21EEvP10TestStatus,"axG",@progbits,_Z21device_test_warp_maskILj21EEvP10TestStatus,comdat
.Lfunc_end70:
	.size	_Z21device_test_warp_maskILj21EEvP10TestStatus, .Lfunc_end70-_Z21device_test_warp_maskILj21EEvP10TestStatus
                                        ; -- End function
	.set _Z21device_test_warp_maskILj21EEvP10TestStatus.num_vgpr, 2
	.set _Z21device_test_warp_maskILj21EEvP10TestStatus.num_agpr, 0
	.set _Z21device_test_warp_maskILj21EEvP10TestStatus.numbered_sgpr, 6
	.set _Z21device_test_warp_maskILj21EEvP10TestStatus.num_named_barrier, 0
	.set _Z21device_test_warp_maskILj21EEvP10TestStatus.private_seg_size, 0
	.set _Z21device_test_warp_maskILj21EEvP10TestStatus.uses_vcc, 1
	.set _Z21device_test_warp_maskILj21EEvP10TestStatus.uses_flat_scratch, 0
	.set _Z21device_test_warp_maskILj21EEvP10TestStatus.has_dyn_sized_stack, 0
	.set _Z21device_test_warp_maskILj21EEvP10TestStatus.has_recursion, 0
	.set _Z21device_test_warp_maskILj21EEvP10TestStatus.has_indirect_call, 0
	.section	.AMDGPU.csdata,"",@progbits
; Kernel info:
; codeLenInByte = 96
; TotalNumSgprs: 8
; NumVgprs: 2
; ScratchSize: 0
; MemoryBound: 0
; FloatMode: 240
; IeeeMode: 1
; LDSByteSize: 0 bytes/workgroup (compile time only)
; SGPRBlocks: 0
; VGPRBlocks: 0
; NumSGPRsForWavesPerEU: 8
; NumVGPRsForWavesPerEU: 2
; NamedBarCnt: 0
; Occupancy: 16
; WaveLimiterHint : 0
; COMPUTE_PGM_RSRC2:SCRATCH_EN: 0
; COMPUTE_PGM_RSRC2:USER_SGPR: 2
; COMPUTE_PGM_RSRC2:TRAP_HANDLER: 0
; COMPUTE_PGM_RSRC2:TGID_X_EN: 1
; COMPUTE_PGM_RSRC2:TGID_Y_EN: 0
; COMPUTE_PGM_RSRC2:TGID_Z_EN: 0
; COMPUTE_PGM_RSRC2:TIDIG_COMP_CNT: 0
	.section	.text._Z21device_test_warp_maskILj22EEvP10TestStatus,"axG",@progbits,_Z21device_test_warp_maskILj22EEvP10TestStatus,comdat
	.protected	_Z21device_test_warp_maskILj22EEvP10TestStatus ; -- Begin function _Z21device_test_warp_maskILj22EEvP10TestStatus
	.globl	_Z21device_test_warp_maskILj22EEvP10TestStatus
	.p2align	8
	.type	_Z21device_test_warp_maskILj22EEvP10TestStatus,@function
_Z21device_test_warp_maskILj22EEvP10TestStatus: ; @_Z21device_test_warp_maskILj22EEvP10TestStatus
; %bb.0:
	s_mov_b64 s[2:3], 22
.LBB71_1:                               ; =>This Inner Loop Header: Depth=1
	s_delay_alu instid0(SALU_CYCLE_1) | instskip(NEXT) | instid1(SALU_CYCLE_1)
	s_lshl_b64 s[4:5], 1, s2
	s_and_b64 s[4:5], s[4:5], 0x3ffffe
	s_delay_alu instid0(SALU_CYCLE_1) | instskip(SKIP_4) | instid1(SALU_CYCLE_1)
	s_cmp_eq_u64 s[4:5], 0
	s_cselect_b32 s4, -1, 0
	s_cmp_lg_u32 s2, 63
	s_add_nc_u64 s[2:3], s[2:3], 1
	s_cselect_b32 s5, -1, 0
	s_and_b32 s5, s4, s5
	s_delay_alu instid0(SALU_CYCLE_1)
	s_and_b32 vcc_lo, exec_lo, s5
	s_cbranch_vccnz .LBB71_1
; %bb.2:
	s_load_b64 s[0:1], s[0:1], 0x0
	v_cndmask_b32_e64 v1, 0, 1, s4
	s_wait_kmcnt 0x0
	global_store_b8 v0, v1, s[0:1]
	s_endpgm
	.section	.rodata,"a",@progbits
	.p2align	6, 0x0
	.amdhsa_kernel _Z21device_test_warp_maskILj22EEvP10TestStatus
		.amdhsa_group_segment_fixed_size 0
		.amdhsa_private_segment_fixed_size 0
		.amdhsa_kernarg_size 8
		.amdhsa_user_sgpr_count 2
		.amdhsa_user_sgpr_dispatch_ptr 0
		.amdhsa_user_sgpr_queue_ptr 0
		.amdhsa_user_sgpr_kernarg_segment_ptr 1
		.amdhsa_user_sgpr_dispatch_id 0
		.amdhsa_user_sgpr_kernarg_preload_length 0
		.amdhsa_user_sgpr_kernarg_preload_offset 0
		.amdhsa_user_sgpr_private_segment_size 0
		.amdhsa_wavefront_size32 1
		.amdhsa_uses_dynamic_stack 0
		.amdhsa_enable_private_segment 0
		.amdhsa_system_sgpr_workgroup_id_x 1
		.amdhsa_system_sgpr_workgroup_id_y 0
		.amdhsa_system_sgpr_workgroup_id_z 0
		.amdhsa_system_sgpr_workgroup_info 0
		.amdhsa_system_vgpr_workitem_id 0
		.amdhsa_next_free_vgpr 2
		.amdhsa_next_free_sgpr 6
		.amdhsa_named_barrier_count 0
		.amdhsa_reserve_vcc 1
		.amdhsa_float_round_mode_32 0
		.amdhsa_float_round_mode_16_64 0
		.amdhsa_float_denorm_mode_32 3
		.amdhsa_float_denorm_mode_16_64 3
		.amdhsa_fp16_overflow 0
		.amdhsa_memory_ordered 1
		.amdhsa_forward_progress 1
		.amdhsa_inst_pref_size 1
		.amdhsa_round_robin_scheduling 0
		.amdhsa_exception_fp_ieee_invalid_op 0
		.amdhsa_exception_fp_denorm_src 0
		.amdhsa_exception_fp_ieee_div_zero 0
		.amdhsa_exception_fp_ieee_overflow 0
		.amdhsa_exception_fp_ieee_underflow 0
		.amdhsa_exception_fp_ieee_inexact 0
		.amdhsa_exception_int_div_zero 0
	.end_amdhsa_kernel
	.section	.text._Z21device_test_warp_maskILj22EEvP10TestStatus,"axG",@progbits,_Z21device_test_warp_maskILj22EEvP10TestStatus,comdat
.Lfunc_end71:
	.size	_Z21device_test_warp_maskILj22EEvP10TestStatus, .Lfunc_end71-_Z21device_test_warp_maskILj22EEvP10TestStatus
                                        ; -- End function
	.set _Z21device_test_warp_maskILj22EEvP10TestStatus.num_vgpr, 2
	.set _Z21device_test_warp_maskILj22EEvP10TestStatus.num_agpr, 0
	.set _Z21device_test_warp_maskILj22EEvP10TestStatus.numbered_sgpr, 6
	.set _Z21device_test_warp_maskILj22EEvP10TestStatus.num_named_barrier, 0
	.set _Z21device_test_warp_maskILj22EEvP10TestStatus.private_seg_size, 0
	.set _Z21device_test_warp_maskILj22EEvP10TestStatus.uses_vcc, 1
	.set _Z21device_test_warp_maskILj22EEvP10TestStatus.uses_flat_scratch, 0
	.set _Z21device_test_warp_maskILj22EEvP10TestStatus.has_dyn_sized_stack, 0
	.set _Z21device_test_warp_maskILj22EEvP10TestStatus.has_recursion, 0
	.set _Z21device_test_warp_maskILj22EEvP10TestStatus.has_indirect_call, 0
	.section	.AMDGPU.csdata,"",@progbits
; Kernel info:
; codeLenInByte = 96
; TotalNumSgprs: 8
; NumVgprs: 2
; ScratchSize: 0
; MemoryBound: 0
; FloatMode: 240
; IeeeMode: 1
; LDSByteSize: 0 bytes/workgroup (compile time only)
; SGPRBlocks: 0
; VGPRBlocks: 0
; NumSGPRsForWavesPerEU: 8
; NumVGPRsForWavesPerEU: 2
; NamedBarCnt: 0
; Occupancy: 16
; WaveLimiterHint : 0
; COMPUTE_PGM_RSRC2:SCRATCH_EN: 0
; COMPUTE_PGM_RSRC2:USER_SGPR: 2
; COMPUTE_PGM_RSRC2:TRAP_HANDLER: 0
; COMPUTE_PGM_RSRC2:TGID_X_EN: 1
; COMPUTE_PGM_RSRC2:TGID_Y_EN: 0
; COMPUTE_PGM_RSRC2:TGID_Z_EN: 0
; COMPUTE_PGM_RSRC2:TIDIG_COMP_CNT: 0
	.section	.text._Z21device_test_warp_maskILj23EEvP10TestStatus,"axG",@progbits,_Z21device_test_warp_maskILj23EEvP10TestStatus,comdat
	.protected	_Z21device_test_warp_maskILj23EEvP10TestStatus ; -- Begin function _Z21device_test_warp_maskILj23EEvP10TestStatus
	.globl	_Z21device_test_warp_maskILj23EEvP10TestStatus
	.p2align	8
	.type	_Z21device_test_warp_maskILj23EEvP10TestStatus,@function
_Z21device_test_warp_maskILj23EEvP10TestStatus: ; @_Z21device_test_warp_maskILj23EEvP10TestStatus
; %bb.0:
	s_mov_b64 s[2:3], 23
.LBB72_1:                               ; =>This Inner Loop Header: Depth=1
	s_delay_alu instid0(SALU_CYCLE_1) | instskip(NEXT) | instid1(SALU_CYCLE_1)
	s_lshl_b64 s[4:5], 1, s2
	s_and_b64 s[4:5], s[4:5], 0x7ffffe
	s_delay_alu instid0(SALU_CYCLE_1) | instskip(SKIP_4) | instid1(SALU_CYCLE_1)
	s_cmp_eq_u64 s[4:5], 0
	s_cselect_b32 s4, -1, 0
	s_cmp_lg_u32 s2, 63
	s_add_nc_u64 s[2:3], s[2:3], 1
	s_cselect_b32 s5, -1, 0
	s_and_b32 s5, s4, s5
	s_delay_alu instid0(SALU_CYCLE_1)
	s_and_b32 vcc_lo, exec_lo, s5
	s_cbranch_vccnz .LBB72_1
; %bb.2:
	s_load_b64 s[0:1], s[0:1], 0x0
	v_cndmask_b32_e64 v1, 0, 1, s4
	s_wait_kmcnt 0x0
	global_store_b8 v0, v1, s[0:1]
	s_endpgm
	.section	.rodata,"a",@progbits
	.p2align	6, 0x0
	.amdhsa_kernel _Z21device_test_warp_maskILj23EEvP10TestStatus
		.amdhsa_group_segment_fixed_size 0
		.amdhsa_private_segment_fixed_size 0
		.amdhsa_kernarg_size 8
		.amdhsa_user_sgpr_count 2
		.amdhsa_user_sgpr_dispatch_ptr 0
		.amdhsa_user_sgpr_queue_ptr 0
		.amdhsa_user_sgpr_kernarg_segment_ptr 1
		.amdhsa_user_sgpr_dispatch_id 0
		.amdhsa_user_sgpr_kernarg_preload_length 0
		.amdhsa_user_sgpr_kernarg_preload_offset 0
		.amdhsa_user_sgpr_private_segment_size 0
		.amdhsa_wavefront_size32 1
		.amdhsa_uses_dynamic_stack 0
		.amdhsa_enable_private_segment 0
		.amdhsa_system_sgpr_workgroup_id_x 1
		.amdhsa_system_sgpr_workgroup_id_y 0
		.amdhsa_system_sgpr_workgroup_id_z 0
		.amdhsa_system_sgpr_workgroup_info 0
		.amdhsa_system_vgpr_workitem_id 0
		.amdhsa_next_free_vgpr 2
		.amdhsa_next_free_sgpr 6
		.amdhsa_named_barrier_count 0
		.amdhsa_reserve_vcc 1
		.amdhsa_float_round_mode_32 0
		.amdhsa_float_round_mode_16_64 0
		.amdhsa_float_denorm_mode_32 3
		.amdhsa_float_denorm_mode_16_64 3
		.amdhsa_fp16_overflow 0
		.amdhsa_memory_ordered 1
		.amdhsa_forward_progress 1
		.amdhsa_inst_pref_size 1
		.amdhsa_round_robin_scheduling 0
		.amdhsa_exception_fp_ieee_invalid_op 0
		.amdhsa_exception_fp_denorm_src 0
		.amdhsa_exception_fp_ieee_div_zero 0
		.amdhsa_exception_fp_ieee_overflow 0
		.amdhsa_exception_fp_ieee_underflow 0
		.amdhsa_exception_fp_ieee_inexact 0
		.amdhsa_exception_int_div_zero 0
	.end_amdhsa_kernel
	.section	.text._Z21device_test_warp_maskILj23EEvP10TestStatus,"axG",@progbits,_Z21device_test_warp_maskILj23EEvP10TestStatus,comdat
.Lfunc_end72:
	.size	_Z21device_test_warp_maskILj23EEvP10TestStatus, .Lfunc_end72-_Z21device_test_warp_maskILj23EEvP10TestStatus
                                        ; -- End function
	.set _Z21device_test_warp_maskILj23EEvP10TestStatus.num_vgpr, 2
	.set _Z21device_test_warp_maskILj23EEvP10TestStatus.num_agpr, 0
	.set _Z21device_test_warp_maskILj23EEvP10TestStatus.numbered_sgpr, 6
	.set _Z21device_test_warp_maskILj23EEvP10TestStatus.num_named_barrier, 0
	.set _Z21device_test_warp_maskILj23EEvP10TestStatus.private_seg_size, 0
	.set _Z21device_test_warp_maskILj23EEvP10TestStatus.uses_vcc, 1
	.set _Z21device_test_warp_maskILj23EEvP10TestStatus.uses_flat_scratch, 0
	.set _Z21device_test_warp_maskILj23EEvP10TestStatus.has_dyn_sized_stack, 0
	.set _Z21device_test_warp_maskILj23EEvP10TestStatus.has_recursion, 0
	.set _Z21device_test_warp_maskILj23EEvP10TestStatus.has_indirect_call, 0
	.section	.AMDGPU.csdata,"",@progbits
; Kernel info:
; codeLenInByte = 96
; TotalNumSgprs: 8
; NumVgprs: 2
; ScratchSize: 0
; MemoryBound: 0
; FloatMode: 240
; IeeeMode: 1
; LDSByteSize: 0 bytes/workgroup (compile time only)
; SGPRBlocks: 0
; VGPRBlocks: 0
; NumSGPRsForWavesPerEU: 8
; NumVGPRsForWavesPerEU: 2
; NamedBarCnt: 0
; Occupancy: 16
; WaveLimiterHint : 0
; COMPUTE_PGM_RSRC2:SCRATCH_EN: 0
; COMPUTE_PGM_RSRC2:USER_SGPR: 2
; COMPUTE_PGM_RSRC2:TRAP_HANDLER: 0
; COMPUTE_PGM_RSRC2:TGID_X_EN: 1
; COMPUTE_PGM_RSRC2:TGID_Y_EN: 0
; COMPUTE_PGM_RSRC2:TGID_Z_EN: 0
; COMPUTE_PGM_RSRC2:TIDIG_COMP_CNT: 0
	.section	.text._Z21device_test_warp_maskILj24EEvP10TestStatus,"axG",@progbits,_Z21device_test_warp_maskILj24EEvP10TestStatus,comdat
	.protected	_Z21device_test_warp_maskILj24EEvP10TestStatus ; -- Begin function _Z21device_test_warp_maskILj24EEvP10TestStatus
	.globl	_Z21device_test_warp_maskILj24EEvP10TestStatus
	.p2align	8
	.type	_Z21device_test_warp_maskILj24EEvP10TestStatus,@function
_Z21device_test_warp_maskILj24EEvP10TestStatus: ; @_Z21device_test_warp_maskILj24EEvP10TestStatus
; %bb.0:
	s_mov_b64 s[2:3], 24
.LBB73_1:                               ; =>This Inner Loop Header: Depth=1
	s_delay_alu instid0(SALU_CYCLE_1) | instskip(NEXT) | instid1(SALU_CYCLE_1)
	s_lshl_b64 s[4:5], 1, s2
	s_and_b64 s[4:5], s[4:5], 0xfffffe
	s_delay_alu instid0(SALU_CYCLE_1) | instskip(SKIP_4) | instid1(SALU_CYCLE_1)
	s_cmp_eq_u64 s[4:5], 0
	s_cselect_b32 s4, -1, 0
	s_cmp_lg_u32 s2, 63
	s_add_nc_u64 s[2:3], s[2:3], 1
	s_cselect_b32 s5, -1, 0
	s_and_b32 s5, s4, s5
	s_delay_alu instid0(SALU_CYCLE_1)
	s_and_b32 vcc_lo, exec_lo, s5
	s_cbranch_vccnz .LBB73_1
; %bb.2:
	s_load_b64 s[0:1], s[0:1], 0x0
	v_cndmask_b32_e64 v1, 0, 1, s4
	s_wait_kmcnt 0x0
	global_store_b8 v0, v1, s[0:1]
	s_endpgm
	.section	.rodata,"a",@progbits
	.p2align	6, 0x0
	.amdhsa_kernel _Z21device_test_warp_maskILj24EEvP10TestStatus
		.amdhsa_group_segment_fixed_size 0
		.amdhsa_private_segment_fixed_size 0
		.amdhsa_kernarg_size 8
		.amdhsa_user_sgpr_count 2
		.amdhsa_user_sgpr_dispatch_ptr 0
		.amdhsa_user_sgpr_queue_ptr 0
		.amdhsa_user_sgpr_kernarg_segment_ptr 1
		.amdhsa_user_sgpr_dispatch_id 0
		.amdhsa_user_sgpr_kernarg_preload_length 0
		.amdhsa_user_sgpr_kernarg_preload_offset 0
		.amdhsa_user_sgpr_private_segment_size 0
		.amdhsa_wavefront_size32 1
		.amdhsa_uses_dynamic_stack 0
		.amdhsa_enable_private_segment 0
		.amdhsa_system_sgpr_workgroup_id_x 1
		.amdhsa_system_sgpr_workgroup_id_y 0
		.amdhsa_system_sgpr_workgroup_id_z 0
		.amdhsa_system_sgpr_workgroup_info 0
		.amdhsa_system_vgpr_workitem_id 0
		.amdhsa_next_free_vgpr 2
		.amdhsa_next_free_sgpr 6
		.amdhsa_named_barrier_count 0
		.amdhsa_reserve_vcc 1
		.amdhsa_float_round_mode_32 0
		.amdhsa_float_round_mode_16_64 0
		.amdhsa_float_denorm_mode_32 3
		.amdhsa_float_denorm_mode_16_64 3
		.amdhsa_fp16_overflow 0
		.amdhsa_memory_ordered 1
		.amdhsa_forward_progress 1
		.amdhsa_inst_pref_size 1
		.amdhsa_round_robin_scheduling 0
		.amdhsa_exception_fp_ieee_invalid_op 0
		.amdhsa_exception_fp_denorm_src 0
		.amdhsa_exception_fp_ieee_div_zero 0
		.amdhsa_exception_fp_ieee_overflow 0
		.amdhsa_exception_fp_ieee_underflow 0
		.amdhsa_exception_fp_ieee_inexact 0
		.amdhsa_exception_int_div_zero 0
	.end_amdhsa_kernel
	.section	.text._Z21device_test_warp_maskILj24EEvP10TestStatus,"axG",@progbits,_Z21device_test_warp_maskILj24EEvP10TestStatus,comdat
.Lfunc_end73:
	.size	_Z21device_test_warp_maskILj24EEvP10TestStatus, .Lfunc_end73-_Z21device_test_warp_maskILj24EEvP10TestStatus
                                        ; -- End function
	.set _Z21device_test_warp_maskILj24EEvP10TestStatus.num_vgpr, 2
	.set _Z21device_test_warp_maskILj24EEvP10TestStatus.num_agpr, 0
	.set _Z21device_test_warp_maskILj24EEvP10TestStatus.numbered_sgpr, 6
	.set _Z21device_test_warp_maskILj24EEvP10TestStatus.num_named_barrier, 0
	.set _Z21device_test_warp_maskILj24EEvP10TestStatus.private_seg_size, 0
	.set _Z21device_test_warp_maskILj24EEvP10TestStatus.uses_vcc, 1
	.set _Z21device_test_warp_maskILj24EEvP10TestStatus.uses_flat_scratch, 0
	.set _Z21device_test_warp_maskILj24EEvP10TestStatus.has_dyn_sized_stack, 0
	.set _Z21device_test_warp_maskILj24EEvP10TestStatus.has_recursion, 0
	.set _Z21device_test_warp_maskILj24EEvP10TestStatus.has_indirect_call, 0
	.section	.AMDGPU.csdata,"",@progbits
; Kernel info:
; codeLenInByte = 96
; TotalNumSgprs: 8
; NumVgprs: 2
; ScratchSize: 0
; MemoryBound: 0
; FloatMode: 240
; IeeeMode: 1
; LDSByteSize: 0 bytes/workgroup (compile time only)
; SGPRBlocks: 0
; VGPRBlocks: 0
; NumSGPRsForWavesPerEU: 8
; NumVGPRsForWavesPerEU: 2
; NamedBarCnt: 0
; Occupancy: 16
; WaveLimiterHint : 0
; COMPUTE_PGM_RSRC2:SCRATCH_EN: 0
; COMPUTE_PGM_RSRC2:USER_SGPR: 2
; COMPUTE_PGM_RSRC2:TRAP_HANDLER: 0
; COMPUTE_PGM_RSRC2:TGID_X_EN: 1
; COMPUTE_PGM_RSRC2:TGID_Y_EN: 0
; COMPUTE_PGM_RSRC2:TGID_Z_EN: 0
; COMPUTE_PGM_RSRC2:TIDIG_COMP_CNT: 0
	.section	.text._Z21device_test_warp_maskILj25EEvP10TestStatus,"axG",@progbits,_Z21device_test_warp_maskILj25EEvP10TestStatus,comdat
	.protected	_Z21device_test_warp_maskILj25EEvP10TestStatus ; -- Begin function _Z21device_test_warp_maskILj25EEvP10TestStatus
	.globl	_Z21device_test_warp_maskILj25EEvP10TestStatus
	.p2align	8
	.type	_Z21device_test_warp_maskILj25EEvP10TestStatus,@function
_Z21device_test_warp_maskILj25EEvP10TestStatus: ; @_Z21device_test_warp_maskILj25EEvP10TestStatus
; %bb.0:
	s_mov_b64 s[2:3], 25
.LBB74_1:                               ; =>This Inner Loop Header: Depth=1
	s_delay_alu instid0(SALU_CYCLE_1) | instskip(NEXT) | instid1(SALU_CYCLE_1)
	s_lshl_b64 s[4:5], 1, s2
	s_and_b64 s[4:5], s[4:5], 0x1fffffe
	s_delay_alu instid0(SALU_CYCLE_1) | instskip(SKIP_4) | instid1(SALU_CYCLE_1)
	s_cmp_eq_u64 s[4:5], 0
	s_cselect_b32 s4, -1, 0
	s_cmp_lg_u32 s2, 63
	s_add_nc_u64 s[2:3], s[2:3], 1
	s_cselect_b32 s5, -1, 0
	s_and_b32 s5, s4, s5
	s_delay_alu instid0(SALU_CYCLE_1)
	s_and_b32 vcc_lo, exec_lo, s5
	s_cbranch_vccnz .LBB74_1
; %bb.2:
	s_load_b64 s[0:1], s[0:1], 0x0
	v_cndmask_b32_e64 v1, 0, 1, s4
	s_wait_kmcnt 0x0
	global_store_b8 v0, v1, s[0:1]
	s_endpgm
	.section	.rodata,"a",@progbits
	.p2align	6, 0x0
	.amdhsa_kernel _Z21device_test_warp_maskILj25EEvP10TestStatus
		.amdhsa_group_segment_fixed_size 0
		.amdhsa_private_segment_fixed_size 0
		.amdhsa_kernarg_size 8
		.amdhsa_user_sgpr_count 2
		.amdhsa_user_sgpr_dispatch_ptr 0
		.amdhsa_user_sgpr_queue_ptr 0
		.amdhsa_user_sgpr_kernarg_segment_ptr 1
		.amdhsa_user_sgpr_dispatch_id 0
		.amdhsa_user_sgpr_kernarg_preload_length 0
		.amdhsa_user_sgpr_kernarg_preload_offset 0
		.amdhsa_user_sgpr_private_segment_size 0
		.amdhsa_wavefront_size32 1
		.amdhsa_uses_dynamic_stack 0
		.amdhsa_enable_private_segment 0
		.amdhsa_system_sgpr_workgroup_id_x 1
		.amdhsa_system_sgpr_workgroup_id_y 0
		.amdhsa_system_sgpr_workgroup_id_z 0
		.amdhsa_system_sgpr_workgroup_info 0
		.amdhsa_system_vgpr_workitem_id 0
		.amdhsa_next_free_vgpr 2
		.amdhsa_next_free_sgpr 6
		.amdhsa_named_barrier_count 0
		.amdhsa_reserve_vcc 1
		.amdhsa_float_round_mode_32 0
		.amdhsa_float_round_mode_16_64 0
		.amdhsa_float_denorm_mode_32 3
		.amdhsa_float_denorm_mode_16_64 3
		.amdhsa_fp16_overflow 0
		.amdhsa_memory_ordered 1
		.amdhsa_forward_progress 1
		.amdhsa_inst_pref_size 1
		.amdhsa_round_robin_scheduling 0
		.amdhsa_exception_fp_ieee_invalid_op 0
		.amdhsa_exception_fp_denorm_src 0
		.amdhsa_exception_fp_ieee_div_zero 0
		.amdhsa_exception_fp_ieee_overflow 0
		.amdhsa_exception_fp_ieee_underflow 0
		.amdhsa_exception_fp_ieee_inexact 0
		.amdhsa_exception_int_div_zero 0
	.end_amdhsa_kernel
	.section	.text._Z21device_test_warp_maskILj25EEvP10TestStatus,"axG",@progbits,_Z21device_test_warp_maskILj25EEvP10TestStatus,comdat
.Lfunc_end74:
	.size	_Z21device_test_warp_maskILj25EEvP10TestStatus, .Lfunc_end74-_Z21device_test_warp_maskILj25EEvP10TestStatus
                                        ; -- End function
	.set _Z21device_test_warp_maskILj25EEvP10TestStatus.num_vgpr, 2
	.set _Z21device_test_warp_maskILj25EEvP10TestStatus.num_agpr, 0
	.set _Z21device_test_warp_maskILj25EEvP10TestStatus.numbered_sgpr, 6
	.set _Z21device_test_warp_maskILj25EEvP10TestStatus.num_named_barrier, 0
	.set _Z21device_test_warp_maskILj25EEvP10TestStatus.private_seg_size, 0
	.set _Z21device_test_warp_maskILj25EEvP10TestStatus.uses_vcc, 1
	.set _Z21device_test_warp_maskILj25EEvP10TestStatus.uses_flat_scratch, 0
	.set _Z21device_test_warp_maskILj25EEvP10TestStatus.has_dyn_sized_stack, 0
	.set _Z21device_test_warp_maskILj25EEvP10TestStatus.has_recursion, 0
	.set _Z21device_test_warp_maskILj25EEvP10TestStatus.has_indirect_call, 0
	.section	.AMDGPU.csdata,"",@progbits
; Kernel info:
; codeLenInByte = 96
; TotalNumSgprs: 8
; NumVgprs: 2
; ScratchSize: 0
; MemoryBound: 0
; FloatMode: 240
; IeeeMode: 1
; LDSByteSize: 0 bytes/workgroup (compile time only)
; SGPRBlocks: 0
; VGPRBlocks: 0
; NumSGPRsForWavesPerEU: 8
; NumVGPRsForWavesPerEU: 2
; NamedBarCnt: 0
; Occupancy: 16
; WaveLimiterHint : 0
; COMPUTE_PGM_RSRC2:SCRATCH_EN: 0
; COMPUTE_PGM_RSRC2:USER_SGPR: 2
; COMPUTE_PGM_RSRC2:TRAP_HANDLER: 0
; COMPUTE_PGM_RSRC2:TGID_X_EN: 1
; COMPUTE_PGM_RSRC2:TGID_Y_EN: 0
; COMPUTE_PGM_RSRC2:TGID_Z_EN: 0
; COMPUTE_PGM_RSRC2:TIDIG_COMP_CNT: 0
	.section	.text._Z21device_test_warp_maskILj26EEvP10TestStatus,"axG",@progbits,_Z21device_test_warp_maskILj26EEvP10TestStatus,comdat
	.protected	_Z21device_test_warp_maskILj26EEvP10TestStatus ; -- Begin function _Z21device_test_warp_maskILj26EEvP10TestStatus
	.globl	_Z21device_test_warp_maskILj26EEvP10TestStatus
	.p2align	8
	.type	_Z21device_test_warp_maskILj26EEvP10TestStatus,@function
_Z21device_test_warp_maskILj26EEvP10TestStatus: ; @_Z21device_test_warp_maskILj26EEvP10TestStatus
; %bb.0:
	s_mov_b64 s[2:3], 26
.LBB75_1:                               ; =>This Inner Loop Header: Depth=1
	s_delay_alu instid0(SALU_CYCLE_1) | instskip(NEXT) | instid1(SALU_CYCLE_1)
	s_lshl_b64 s[4:5], 1, s2
	s_and_b64 s[4:5], s[4:5], 0x3fffffe
	s_delay_alu instid0(SALU_CYCLE_1) | instskip(SKIP_4) | instid1(SALU_CYCLE_1)
	s_cmp_eq_u64 s[4:5], 0
	s_cselect_b32 s4, -1, 0
	s_cmp_lg_u32 s2, 63
	s_add_nc_u64 s[2:3], s[2:3], 1
	s_cselect_b32 s5, -1, 0
	s_and_b32 s5, s4, s5
	s_delay_alu instid0(SALU_CYCLE_1)
	s_and_b32 vcc_lo, exec_lo, s5
	s_cbranch_vccnz .LBB75_1
; %bb.2:
	s_load_b64 s[0:1], s[0:1], 0x0
	v_cndmask_b32_e64 v1, 0, 1, s4
	s_wait_kmcnt 0x0
	global_store_b8 v0, v1, s[0:1]
	s_endpgm
	.section	.rodata,"a",@progbits
	.p2align	6, 0x0
	.amdhsa_kernel _Z21device_test_warp_maskILj26EEvP10TestStatus
		.amdhsa_group_segment_fixed_size 0
		.amdhsa_private_segment_fixed_size 0
		.amdhsa_kernarg_size 8
		.amdhsa_user_sgpr_count 2
		.amdhsa_user_sgpr_dispatch_ptr 0
		.amdhsa_user_sgpr_queue_ptr 0
		.amdhsa_user_sgpr_kernarg_segment_ptr 1
		.amdhsa_user_sgpr_dispatch_id 0
		.amdhsa_user_sgpr_kernarg_preload_length 0
		.amdhsa_user_sgpr_kernarg_preload_offset 0
		.amdhsa_user_sgpr_private_segment_size 0
		.amdhsa_wavefront_size32 1
		.amdhsa_uses_dynamic_stack 0
		.amdhsa_enable_private_segment 0
		.amdhsa_system_sgpr_workgroup_id_x 1
		.amdhsa_system_sgpr_workgroup_id_y 0
		.amdhsa_system_sgpr_workgroup_id_z 0
		.amdhsa_system_sgpr_workgroup_info 0
		.amdhsa_system_vgpr_workitem_id 0
		.amdhsa_next_free_vgpr 2
		.amdhsa_next_free_sgpr 6
		.amdhsa_named_barrier_count 0
		.amdhsa_reserve_vcc 1
		.amdhsa_float_round_mode_32 0
		.amdhsa_float_round_mode_16_64 0
		.amdhsa_float_denorm_mode_32 3
		.amdhsa_float_denorm_mode_16_64 3
		.amdhsa_fp16_overflow 0
		.amdhsa_memory_ordered 1
		.amdhsa_forward_progress 1
		.amdhsa_inst_pref_size 1
		.amdhsa_round_robin_scheduling 0
		.amdhsa_exception_fp_ieee_invalid_op 0
		.amdhsa_exception_fp_denorm_src 0
		.amdhsa_exception_fp_ieee_div_zero 0
		.amdhsa_exception_fp_ieee_overflow 0
		.amdhsa_exception_fp_ieee_underflow 0
		.amdhsa_exception_fp_ieee_inexact 0
		.amdhsa_exception_int_div_zero 0
	.end_amdhsa_kernel
	.section	.text._Z21device_test_warp_maskILj26EEvP10TestStatus,"axG",@progbits,_Z21device_test_warp_maskILj26EEvP10TestStatus,comdat
.Lfunc_end75:
	.size	_Z21device_test_warp_maskILj26EEvP10TestStatus, .Lfunc_end75-_Z21device_test_warp_maskILj26EEvP10TestStatus
                                        ; -- End function
	.set _Z21device_test_warp_maskILj26EEvP10TestStatus.num_vgpr, 2
	.set _Z21device_test_warp_maskILj26EEvP10TestStatus.num_agpr, 0
	.set _Z21device_test_warp_maskILj26EEvP10TestStatus.numbered_sgpr, 6
	.set _Z21device_test_warp_maskILj26EEvP10TestStatus.num_named_barrier, 0
	.set _Z21device_test_warp_maskILj26EEvP10TestStatus.private_seg_size, 0
	.set _Z21device_test_warp_maskILj26EEvP10TestStatus.uses_vcc, 1
	.set _Z21device_test_warp_maskILj26EEvP10TestStatus.uses_flat_scratch, 0
	.set _Z21device_test_warp_maskILj26EEvP10TestStatus.has_dyn_sized_stack, 0
	.set _Z21device_test_warp_maskILj26EEvP10TestStatus.has_recursion, 0
	.set _Z21device_test_warp_maskILj26EEvP10TestStatus.has_indirect_call, 0
	.section	.AMDGPU.csdata,"",@progbits
; Kernel info:
; codeLenInByte = 96
; TotalNumSgprs: 8
; NumVgprs: 2
; ScratchSize: 0
; MemoryBound: 0
; FloatMode: 240
; IeeeMode: 1
; LDSByteSize: 0 bytes/workgroup (compile time only)
; SGPRBlocks: 0
; VGPRBlocks: 0
; NumSGPRsForWavesPerEU: 8
; NumVGPRsForWavesPerEU: 2
; NamedBarCnt: 0
; Occupancy: 16
; WaveLimiterHint : 0
; COMPUTE_PGM_RSRC2:SCRATCH_EN: 0
; COMPUTE_PGM_RSRC2:USER_SGPR: 2
; COMPUTE_PGM_RSRC2:TRAP_HANDLER: 0
; COMPUTE_PGM_RSRC2:TGID_X_EN: 1
; COMPUTE_PGM_RSRC2:TGID_Y_EN: 0
; COMPUTE_PGM_RSRC2:TGID_Z_EN: 0
; COMPUTE_PGM_RSRC2:TIDIG_COMP_CNT: 0
	.section	.text._Z21device_test_warp_maskILj27EEvP10TestStatus,"axG",@progbits,_Z21device_test_warp_maskILj27EEvP10TestStatus,comdat
	.protected	_Z21device_test_warp_maskILj27EEvP10TestStatus ; -- Begin function _Z21device_test_warp_maskILj27EEvP10TestStatus
	.globl	_Z21device_test_warp_maskILj27EEvP10TestStatus
	.p2align	8
	.type	_Z21device_test_warp_maskILj27EEvP10TestStatus,@function
_Z21device_test_warp_maskILj27EEvP10TestStatus: ; @_Z21device_test_warp_maskILj27EEvP10TestStatus
; %bb.0:
	s_mov_b64 s[2:3], 27
.LBB76_1:                               ; =>This Inner Loop Header: Depth=1
	s_delay_alu instid0(SALU_CYCLE_1) | instskip(NEXT) | instid1(SALU_CYCLE_1)
	s_lshl_b64 s[4:5], 1, s2
	s_and_b64 s[4:5], s[4:5], 0x7fffffe
	s_delay_alu instid0(SALU_CYCLE_1) | instskip(SKIP_4) | instid1(SALU_CYCLE_1)
	s_cmp_eq_u64 s[4:5], 0
	s_cselect_b32 s4, -1, 0
	s_cmp_lg_u32 s2, 63
	s_add_nc_u64 s[2:3], s[2:3], 1
	s_cselect_b32 s5, -1, 0
	s_and_b32 s5, s4, s5
	s_delay_alu instid0(SALU_CYCLE_1)
	s_and_b32 vcc_lo, exec_lo, s5
	s_cbranch_vccnz .LBB76_1
; %bb.2:
	s_load_b64 s[0:1], s[0:1], 0x0
	v_cndmask_b32_e64 v1, 0, 1, s4
	s_wait_kmcnt 0x0
	global_store_b8 v0, v1, s[0:1]
	s_endpgm
	.section	.rodata,"a",@progbits
	.p2align	6, 0x0
	.amdhsa_kernel _Z21device_test_warp_maskILj27EEvP10TestStatus
		.amdhsa_group_segment_fixed_size 0
		.amdhsa_private_segment_fixed_size 0
		.amdhsa_kernarg_size 8
		.amdhsa_user_sgpr_count 2
		.amdhsa_user_sgpr_dispatch_ptr 0
		.amdhsa_user_sgpr_queue_ptr 0
		.amdhsa_user_sgpr_kernarg_segment_ptr 1
		.amdhsa_user_sgpr_dispatch_id 0
		.amdhsa_user_sgpr_kernarg_preload_length 0
		.amdhsa_user_sgpr_kernarg_preload_offset 0
		.amdhsa_user_sgpr_private_segment_size 0
		.amdhsa_wavefront_size32 1
		.amdhsa_uses_dynamic_stack 0
		.amdhsa_enable_private_segment 0
		.amdhsa_system_sgpr_workgroup_id_x 1
		.amdhsa_system_sgpr_workgroup_id_y 0
		.amdhsa_system_sgpr_workgroup_id_z 0
		.amdhsa_system_sgpr_workgroup_info 0
		.amdhsa_system_vgpr_workitem_id 0
		.amdhsa_next_free_vgpr 2
		.amdhsa_next_free_sgpr 6
		.amdhsa_named_barrier_count 0
		.amdhsa_reserve_vcc 1
		.amdhsa_float_round_mode_32 0
		.amdhsa_float_round_mode_16_64 0
		.amdhsa_float_denorm_mode_32 3
		.amdhsa_float_denorm_mode_16_64 3
		.amdhsa_fp16_overflow 0
		.amdhsa_memory_ordered 1
		.amdhsa_forward_progress 1
		.amdhsa_inst_pref_size 1
		.amdhsa_round_robin_scheduling 0
		.amdhsa_exception_fp_ieee_invalid_op 0
		.amdhsa_exception_fp_denorm_src 0
		.amdhsa_exception_fp_ieee_div_zero 0
		.amdhsa_exception_fp_ieee_overflow 0
		.amdhsa_exception_fp_ieee_underflow 0
		.amdhsa_exception_fp_ieee_inexact 0
		.amdhsa_exception_int_div_zero 0
	.end_amdhsa_kernel
	.section	.text._Z21device_test_warp_maskILj27EEvP10TestStatus,"axG",@progbits,_Z21device_test_warp_maskILj27EEvP10TestStatus,comdat
.Lfunc_end76:
	.size	_Z21device_test_warp_maskILj27EEvP10TestStatus, .Lfunc_end76-_Z21device_test_warp_maskILj27EEvP10TestStatus
                                        ; -- End function
	.set _Z21device_test_warp_maskILj27EEvP10TestStatus.num_vgpr, 2
	.set _Z21device_test_warp_maskILj27EEvP10TestStatus.num_agpr, 0
	.set _Z21device_test_warp_maskILj27EEvP10TestStatus.numbered_sgpr, 6
	.set _Z21device_test_warp_maskILj27EEvP10TestStatus.num_named_barrier, 0
	.set _Z21device_test_warp_maskILj27EEvP10TestStatus.private_seg_size, 0
	.set _Z21device_test_warp_maskILj27EEvP10TestStatus.uses_vcc, 1
	.set _Z21device_test_warp_maskILj27EEvP10TestStatus.uses_flat_scratch, 0
	.set _Z21device_test_warp_maskILj27EEvP10TestStatus.has_dyn_sized_stack, 0
	.set _Z21device_test_warp_maskILj27EEvP10TestStatus.has_recursion, 0
	.set _Z21device_test_warp_maskILj27EEvP10TestStatus.has_indirect_call, 0
	.section	.AMDGPU.csdata,"",@progbits
; Kernel info:
; codeLenInByte = 96
; TotalNumSgprs: 8
; NumVgprs: 2
; ScratchSize: 0
; MemoryBound: 0
; FloatMode: 240
; IeeeMode: 1
; LDSByteSize: 0 bytes/workgroup (compile time only)
; SGPRBlocks: 0
; VGPRBlocks: 0
; NumSGPRsForWavesPerEU: 8
; NumVGPRsForWavesPerEU: 2
; NamedBarCnt: 0
; Occupancy: 16
; WaveLimiterHint : 0
; COMPUTE_PGM_RSRC2:SCRATCH_EN: 0
; COMPUTE_PGM_RSRC2:USER_SGPR: 2
; COMPUTE_PGM_RSRC2:TRAP_HANDLER: 0
; COMPUTE_PGM_RSRC2:TGID_X_EN: 1
; COMPUTE_PGM_RSRC2:TGID_Y_EN: 0
; COMPUTE_PGM_RSRC2:TGID_Z_EN: 0
; COMPUTE_PGM_RSRC2:TIDIG_COMP_CNT: 0
	.section	.text._Z21device_test_warp_maskILj28EEvP10TestStatus,"axG",@progbits,_Z21device_test_warp_maskILj28EEvP10TestStatus,comdat
	.protected	_Z21device_test_warp_maskILj28EEvP10TestStatus ; -- Begin function _Z21device_test_warp_maskILj28EEvP10TestStatus
	.globl	_Z21device_test_warp_maskILj28EEvP10TestStatus
	.p2align	8
	.type	_Z21device_test_warp_maskILj28EEvP10TestStatus,@function
_Z21device_test_warp_maskILj28EEvP10TestStatus: ; @_Z21device_test_warp_maskILj28EEvP10TestStatus
; %bb.0:
	s_mov_b64 s[2:3], 28
.LBB77_1:                               ; =>This Inner Loop Header: Depth=1
	s_delay_alu instid0(SALU_CYCLE_1) | instskip(NEXT) | instid1(SALU_CYCLE_1)
	s_lshl_b64 s[4:5], 1, s2
	s_and_b64 s[4:5], s[4:5], 0xffffffe
	s_delay_alu instid0(SALU_CYCLE_1) | instskip(SKIP_4) | instid1(SALU_CYCLE_1)
	s_cmp_eq_u64 s[4:5], 0
	s_cselect_b32 s4, -1, 0
	s_cmp_lg_u32 s2, 63
	s_add_nc_u64 s[2:3], s[2:3], 1
	s_cselect_b32 s5, -1, 0
	s_and_b32 s5, s4, s5
	s_delay_alu instid0(SALU_CYCLE_1)
	s_and_b32 vcc_lo, exec_lo, s5
	s_cbranch_vccnz .LBB77_1
; %bb.2:
	s_load_b64 s[0:1], s[0:1], 0x0
	v_cndmask_b32_e64 v1, 0, 1, s4
	s_wait_kmcnt 0x0
	global_store_b8 v0, v1, s[0:1]
	s_endpgm
	.section	.rodata,"a",@progbits
	.p2align	6, 0x0
	.amdhsa_kernel _Z21device_test_warp_maskILj28EEvP10TestStatus
		.amdhsa_group_segment_fixed_size 0
		.amdhsa_private_segment_fixed_size 0
		.amdhsa_kernarg_size 8
		.amdhsa_user_sgpr_count 2
		.amdhsa_user_sgpr_dispatch_ptr 0
		.amdhsa_user_sgpr_queue_ptr 0
		.amdhsa_user_sgpr_kernarg_segment_ptr 1
		.amdhsa_user_sgpr_dispatch_id 0
		.amdhsa_user_sgpr_kernarg_preload_length 0
		.amdhsa_user_sgpr_kernarg_preload_offset 0
		.amdhsa_user_sgpr_private_segment_size 0
		.amdhsa_wavefront_size32 1
		.amdhsa_uses_dynamic_stack 0
		.amdhsa_enable_private_segment 0
		.amdhsa_system_sgpr_workgroup_id_x 1
		.amdhsa_system_sgpr_workgroup_id_y 0
		.amdhsa_system_sgpr_workgroup_id_z 0
		.amdhsa_system_sgpr_workgroup_info 0
		.amdhsa_system_vgpr_workitem_id 0
		.amdhsa_next_free_vgpr 2
		.amdhsa_next_free_sgpr 6
		.amdhsa_named_barrier_count 0
		.amdhsa_reserve_vcc 1
		.amdhsa_float_round_mode_32 0
		.amdhsa_float_round_mode_16_64 0
		.amdhsa_float_denorm_mode_32 3
		.amdhsa_float_denorm_mode_16_64 3
		.amdhsa_fp16_overflow 0
		.amdhsa_memory_ordered 1
		.amdhsa_forward_progress 1
		.amdhsa_inst_pref_size 1
		.amdhsa_round_robin_scheduling 0
		.amdhsa_exception_fp_ieee_invalid_op 0
		.amdhsa_exception_fp_denorm_src 0
		.amdhsa_exception_fp_ieee_div_zero 0
		.amdhsa_exception_fp_ieee_overflow 0
		.amdhsa_exception_fp_ieee_underflow 0
		.amdhsa_exception_fp_ieee_inexact 0
		.amdhsa_exception_int_div_zero 0
	.end_amdhsa_kernel
	.section	.text._Z21device_test_warp_maskILj28EEvP10TestStatus,"axG",@progbits,_Z21device_test_warp_maskILj28EEvP10TestStatus,comdat
.Lfunc_end77:
	.size	_Z21device_test_warp_maskILj28EEvP10TestStatus, .Lfunc_end77-_Z21device_test_warp_maskILj28EEvP10TestStatus
                                        ; -- End function
	.set _Z21device_test_warp_maskILj28EEvP10TestStatus.num_vgpr, 2
	.set _Z21device_test_warp_maskILj28EEvP10TestStatus.num_agpr, 0
	.set _Z21device_test_warp_maskILj28EEvP10TestStatus.numbered_sgpr, 6
	.set _Z21device_test_warp_maskILj28EEvP10TestStatus.num_named_barrier, 0
	.set _Z21device_test_warp_maskILj28EEvP10TestStatus.private_seg_size, 0
	.set _Z21device_test_warp_maskILj28EEvP10TestStatus.uses_vcc, 1
	.set _Z21device_test_warp_maskILj28EEvP10TestStatus.uses_flat_scratch, 0
	.set _Z21device_test_warp_maskILj28EEvP10TestStatus.has_dyn_sized_stack, 0
	.set _Z21device_test_warp_maskILj28EEvP10TestStatus.has_recursion, 0
	.set _Z21device_test_warp_maskILj28EEvP10TestStatus.has_indirect_call, 0
	.section	.AMDGPU.csdata,"",@progbits
; Kernel info:
; codeLenInByte = 96
; TotalNumSgprs: 8
; NumVgprs: 2
; ScratchSize: 0
; MemoryBound: 0
; FloatMode: 240
; IeeeMode: 1
; LDSByteSize: 0 bytes/workgroup (compile time only)
; SGPRBlocks: 0
; VGPRBlocks: 0
; NumSGPRsForWavesPerEU: 8
; NumVGPRsForWavesPerEU: 2
; NamedBarCnt: 0
; Occupancy: 16
; WaveLimiterHint : 0
; COMPUTE_PGM_RSRC2:SCRATCH_EN: 0
; COMPUTE_PGM_RSRC2:USER_SGPR: 2
; COMPUTE_PGM_RSRC2:TRAP_HANDLER: 0
; COMPUTE_PGM_RSRC2:TGID_X_EN: 1
; COMPUTE_PGM_RSRC2:TGID_Y_EN: 0
; COMPUTE_PGM_RSRC2:TGID_Z_EN: 0
; COMPUTE_PGM_RSRC2:TIDIG_COMP_CNT: 0
	.section	.text._Z21device_test_warp_maskILj29EEvP10TestStatus,"axG",@progbits,_Z21device_test_warp_maskILj29EEvP10TestStatus,comdat
	.protected	_Z21device_test_warp_maskILj29EEvP10TestStatus ; -- Begin function _Z21device_test_warp_maskILj29EEvP10TestStatus
	.globl	_Z21device_test_warp_maskILj29EEvP10TestStatus
	.p2align	8
	.type	_Z21device_test_warp_maskILj29EEvP10TestStatus,@function
_Z21device_test_warp_maskILj29EEvP10TestStatus: ; @_Z21device_test_warp_maskILj29EEvP10TestStatus
; %bb.0:
	s_mov_b64 s[2:3], 29
.LBB78_1:                               ; =>This Inner Loop Header: Depth=1
	s_delay_alu instid0(SALU_CYCLE_1) | instskip(NEXT) | instid1(SALU_CYCLE_1)
	s_lshl_b64 s[4:5], 1, s2
	s_and_b64 s[4:5], s[4:5], 0x1ffffffe
	s_delay_alu instid0(SALU_CYCLE_1) | instskip(SKIP_4) | instid1(SALU_CYCLE_1)
	s_cmp_eq_u64 s[4:5], 0
	s_cselect_b32 s4, -1, 0
	s_cmp_lg_u32 s2, 63
	s_add_nc_u64 s[2:3], s[2:3], 1
	s_cselect_b32 s5, -1, 0
	s_and_b32 s5, s4, s5
	s_delay_alu instid0(SALU_CYCLE_1)
	s_and_b32 vcc_lo, exec_lo, s5
	s_cbranch_vccnz .LBB78_1
; %bb.2:
	s_load_b64 s[0:1], s[0:1], 0x0
	v_cndmask_b32_e64 v1, 0, 1, s4
	s_wait_kmcnt 0x0
	global_store_b8 v0, v1, s[0:1]
	s_endpgm
	.section	.rodata,"a",@progbits
	.p2align	6, 0x0
	.amdhsa_kernel _Z21device_test_warp_maskILj29EEvP10TestStatus
		.amdhsa_group_segment_fixed_size 0
		.amdhsa_private_segment_fixed_size 0
		.amdhsa_kernarg_size 8
		.amdhsa_user_sgpr_count 2
		.amdhsa_user_sgpr_dispatch_ptr 0
		.amdhsa_user_sgpr_queue_ptr 0
		.amdhsa_user_sgpr_kernarg_segment_ptr 1
		.amdhsa_user_sgpr_dispatch_id 0
		.amdhsa_user_sgpr_kernarg_preload_length 0
		.amdhsa_user_sgpr_kernarg_preload_offset 0
		.amdhsa_user_sgpr_private_segment_size 0
		.amdhsa_wavefront_size32 1
		.amdhsa_uses_dynamic_stack 0
		.amdhsa_enable_private_segment 0
		.amdhsa_system_sgpr_workgroup_id_x 1
		.amdhsa_system_sgpr_workgroup_id_y 0
		.amdhsa_system_sgpr_workgroup_id_z 0
		.amdhsa_system_sgpr_workgroup_info 0
		.amdhsa_system_vgpr_workitem_id 0
		.amdhsa_next_free_vgpr 2
		.amdhsa_next_free_sgpr 6
		.amdhsa_named_barrier_count 0
		.amdhsa_reserve_vcc 1
		.amdhsa_float_round_mode_32 0
		.amdhsa_float_round_mode_16_64 0
		.amdhsa_float_denorm_mode_32 3
		.amdhsa_float_denorm_mode_16_64 3
		.amdhsa_fp16_overflow 0
		.amdhsa_memory_ordered 1
		.amdhsa_forward_progress 1
		.amdhsa_inst_pref_size 1
		.amdhsa_round_robin_scheduling 0
		.amdhsa_exception_fp_ieee_invalid_op 0
		.amdhsa_exception_fp_denorm_src 0
		.amdhsa_exception_fp_ieee_div_zero 0
		.amdhsa_exception_fp_ieee_overflow 0
		.amdhsa_exception_fp_ieee_underflow 0
		.amdhsa_exception_fp_ieee_inexact 0
		.amdhsa_exception_int_div_zero 0
	.end_amdhsa_kernel
	.section	.text._Z21device_test_warp_maskILj29EEvP10TestStatus,"axG",@progbits,_Z21device_test_warp_maskILj29EEvP10TestStatus,comdat
.Lfunc_end78:
	.size	_Z21device_test_warp_maskILj29EEvP10TestStatus, .Lfunc_end78-_Z21device_test_warp_maskILj29EEvP10TestStatus
                                        ; -- End function
	.set _Z21device_test_warp_maskILj29EEvP10TestStatus.num_vgpr, 2
	.set _Z21device_test_warp_maskILj29EEvP10TestStatus.num_agpr, 0
	.set _Z21device_test_warp_maskILj29EEvP10TestStatus.numbered_sgpr, 6
	.set _Z21device_test_warp_maskILj29EEvP10TestStatus.num_named_barrier, 0
	.set _Z21device_test_warp_maskILj29EEvP10TestStatus.private_seg_size, 0
	.set _Z21device_test_warp_maskILj29EEvP10TestStatus.uses_vcc, 1
	.set _Z21device_test_warp_maskILj29EEvP10TestStatus.uses_flat_scratch, 0
	.set _Z21device_test_warp_maskILj29EEvP10TestStatus.has_dyn_sized_stack, 0
	.set _Z21device_test_warp_maskILj29EEvP10TestStatus.has_recursion, 0
	.set _Z21device_test_warp_maskILj29EEvP10TestStatus.has_indirect_call, 0
	.section	.AMDGPU.csdata,"",@progbits
; Kernel info:
; codeLenInByte = 96
; TotalNumSgprs: 8
; NumVgprs: 2
; ScratchSize: 0
; MemoryBound: 0
; FloatMode: 240
; IeeeMode: 1
; LDSByteSize: 0 bytes/workgroup (compile time only)
; SGPRBlocks: 0
; VGPRBlocks: 0
; NumSGPRsForWavesPerEU: 8
; NumVGPRsForWavesPerEU: 2
; NamedBarCnt: 0
; Occupancy: 16
; WaveLimiterHint : 0
; COMPUTE_PGM_RSRC2:SCRATCH_EN: 0
; COMPUTE_PGM_RSRC2:USER_SGPR: 2
; COMPUTE_PGM_RSRC2:TRAP_HANDLER: 0
; COMPUTE_PGM_RSRC2:TGID_X_EN: 1
; COMPUTE_PGM_RSRC2:TGID_Y_EN: 0
; COMPUTE_PGM_RSRC2:TGID_Z_EN: 0
; COMPUTE_PGM_RSRC2:TIDIG_COMP_CNT: 0
	.section	.text._Z21device_test_warp_maskILj30EEvP10TestStatus,"axG",@progbits,_Z21device_test_warp_maskILj30EEvP10TestStatus,comdat
	.protected	_Z21device_test_warp_maskILj30EEvP10TestStatus ; -- Begin function _Z21device_test_warp_maskILj30EEvP10TestStatus
	.globl	_Z21device_test_warp_maskILj30EEvP10TestStatus
	.p2align	8
	.type	_Z21device_test_warp_maskILj30EEvP10TestStatus,@function
_Z21device_test_warp_maskILj30EEvP10TestStatus: ; @_Z21device_test_warp_maskILj30EEvP10TestStatus
; %bb.0:
	s_mov_b64 s[2:3], 30
.LBB79_1:                               ; =>This Inner Loop Header: Depth=1
	s_delay_alu instid0(SALU_CYCLE_1) | instskip(NEXT) | instid1(SALU_CYCLE_1)
	s_lshl_b64 s[4:5], 1, s2
	s_and_b64 s[4:5], s[4:5], 0x3ffffffe
	s_delay_alu instid0(SALU_CYCLE_1) | instskip(SKIP_4) | instid1(SALU_CYCLE_1)
	s_cmp_eq_u64 s[4:5], 0
	s_cselect_b32 s4, -1, 0
	s_cmp_lg_u32 s2, 63
	s_add_nc_u64 s[2:3], s[2:3], 1
	s_cselect_b32 s5, -1, 0
	s_and_b32 s5, s4, s5
	s_delay_alu instid0(SALU_CYCLE_1)
	s_and_b32 vcc_lo, exec_lo, s5
	s_cbranch_vccnz .LBB79_1
; %bb.2:
	s_load_b64 s[0:1], s[0:1], 0x0
	v_cndmask_b32_e64 v1, 0, 1, s4
	s_wait_kmcnt 0x0
	global_store_b8 v0, v1, s[0:1]
	s_endpgm
	.section	.rodata,"a",@progbits
	.p2align	6, 0x0
	.amdhsa_kernel _Z21device_test_warp_maskILj30EEvP10TestStatus
		.amdhsa_group_segment_fixed_size 0
		.amdhsa_private_segment_fixed_size 0
		.amdhsa_kernarg_size 8
		.amdhsa_user_sgpr_count 2
		.amdhsa_user_sgpr_dispatch_ptr 0
		.amdhsa_user_sgpr_queue_ptr 0
		.amdhsa_user_sgpr_kernarg_segment_ptr 1
		.amdhsa_user_sgpr_dispatch_id 0
		.amdhsa_user_sgpr_kernarg_preload_length 0
		.amdhsa_user_sgpr_kernarg_preload_offset 0
		.amdhsa_user_sgpr_private_segment_size 0
		.amdhsa_wavefront_size32 1
		.amdhsa_uses_dynamic_stack 0
		.amdhsa_enable_private_segment 0
		.amdhsa_system_sgpr_workgroup_id_x 1
		.amdhsa_system_sgpr_workgroup_id_y 0
		.amdhsa_system_sgpr_workgroup_id_z 0
		.amdhsa_system_sgpr_workgroup_info 0
		.amdhsa_system_vgpr_workitem_id 0
		.amdhsa_next_free_vgpr 2
		.amdhsa_next_free_sgpr 6
		.amdhsa_named_barrier_count 0
		.amdhsa_reserve_vcc 1
		.amdhsa_float_round_mode_32 0
		.amdhsa_float_round_mode_16_64 0
		.amdhsa_float_denorm_mode_32 3
		.amdhsa_float_denorm_mode_16_64 3
		.amdhsa_fp16_overflow 0
		.amdhsa_memory_ordered 1
		.amdhsa_forward_progress 1
		.amdhsa_inst_pref_size 1
		.amdhsa_round_robin_scheduling 0
		.amdhsa_exception_fp_ieee_invalid_op 0
		.amdhsa_exception_fp_denorm_src 0
		.amdhsa_exception_fp_ieee_div_zero 0
		.amdhsa_exception_fp_ieee_overflow 0
		.amdhsa_exception_fp_ieee_underflow 0
		.amdhsa_exception_fp_ieee_inexact 0
		.amdhsa_exception_int_div_zero 0
	.end_amdhsa_kernel
	.section	.text._Z21device_test_warp_maskILj30EEvP10TestStatus,"axG",@progbits,_Z21device_test_warp_maskILj30EEvP10TestStatus,comdat
.Lfunc_end79:
	.size	_Z21device_test_warp_maskILj30EEvP10TestStatus, .Lfunc_end79-_Z21device_test_warp_maskILj30EEvP10TestStatus
                                        ; -- End function
	.set _Z21device_test_warp_maskILj30EEvP10TestStatus.num_vgpr, 2
	.set _Z21device_test_warp_maskILj30EEvP10TestStatus.num_agpr, 0
	.set _Z21device_test_warp_maskILj30EEvP10TestStatus.numbered_sgpr, 6
	.set _Z21device_test_warp_maskILj30EEvP10TestStatus.num_named_barrier, 0
	.set _Z21device_test_warp_maskILj30EEvP10TestStatus.private_seg_size, 0
	.set _Z21device_test_warp_maskILj30EEvP10TestStatus.uses_vcc, 1
	.set _Z21device_test_warp_maskILj30EEvP10TestStatus.uses_flat_scratch, 0
	.set _Z21device_test_warp_maskILj30EEvP10TestStatus.has_dyn_sized_stack, 0
	.set _Z21device_test_warp_maskILj30EEvP10TestStatus.has_recursion, 0
	.set _Z21device_test_warp_maskILj30EEvP10TestStatus.has_indirect_call, 0
	.section	.AMDGPU.csdata,"",@progbits
; Kernel info:
; codeLenInByte = 96
; TotalNumSgprs: 8
; NumVgprs: 2
; ScratchSize: 0
; MemoryBound: 0
; FloatMode: 240
; IeeeMode: 1
; LDSByteSize: 0 bytes/workgroup (compile time only)
; SGPRBlocks: 0
; VGPRBlocks: 0
; NumSGPRsForWavesPerEU: 8
; NumVGPRsForWavesPerEU: 2
; NamedBarCnt: 0
; Occupancy: 16
; WaveLimiterHint : 0
; COMPUTE_PGM_RSRC2:SCRATCH_EN: 0
; COMPUTE_PGM_RSRC2:USER_SGPR: 2
; COMPUTE_PGM_RSRC2:TRAP_HANDLER: 0
; COMPUTE_PGM_RSRC2:TGID_X_EN: 1
; COMPUTE_PGM_RSRC2:TGID_Y_EN: 0
; COMPUTE_PGM_RSRC2:TGID_Z_EN: 0
; COMPUTE_PGM_RSRC2:TIDIG_COMP_CNT: 0
	.section	.text._Z21device_test_warp_maskILj31EEvP10TestStatus,"axG",@progbits,_Z21device_test_warp_maskILj31EEvP10TestStatus,comdat
	.protected	_Z21device_test_warp_maskILj31EEvP10TestStatus ; -- Begin function _Z21device_test_warp_maskILj31EEvP10TestStatus
	.globl	_Z21device_test_warp_maskILj31EEvP10TestStatus
	.p2align	8
	.type	_Z21device_test_warp_maskILj31EEvP10TestStatus,@function
_Z21device_test_warp_maskILj31EEvP10TestStatus: ; @_Z21device_test_warp_maskILj31EEvP10TestStatus
; %bb.0:
	s_mov_b64 s[2:3], 31
.LBB80_1:                               ; =>This Inner Loop Header: Depth=1
	s_delay_alu instid0(SALU_CYCLE_1) | instskip(NEXT) | instid1(SALU_CYCLE_1)
	s_lshl_b64 s[4:5], 1, s2
	s_and_b64 s[4:5], s[4:5], 0x7ffffffe
	s_delay_alu instid0(SALU_CYCLE_1) | instskip(SKIP_4) | instid1(SALU_CYCLE_1)
	s_cmp_eq_u64 s[4:5], 0
	s_cselect_b32 s4, -1, 0
	s_cmp_lg_u32 s2, 63
	s_add_nc_u64 s[2:3], s[2:3], 1
	s_cselect_b32 s5, -1, 0
	s_and_b32 s5, s4, s5
	s_delay_alu instid0(SALU_CYCLE_1)
	s_and_b32 vcc_lo, exec_lo, s5
	s_cbranch_vccnz .LBB80_1
; %bb.2:
	s_load_b64 s[0:1], s[0:1], 0x0
	v_cndmask_b32_e64 v1, 0, 1, s4
	s_wait_kmcnt 0x0
	global_store_b8 v0, v1, s[0:1]
	s_endpgm
	.section	.rodata,"a",@progbits
	.p2align	6, 0x0
	.amdhsa_kernel _Z21device_test_warp_maskILj31EEvP10TestStatus
		.amdhsa_group_segment_fixed_size 0
		.amdhsa_private_segment_fixed_size 0
		.amdhsa_kernarg_size 8
		.amdhsa_user_sgpr_count 2
		.amdhsa_user_sgpr_dispatch_ptr 0
		.amdhsa_user_sgpr_queue_ptr 0
		.amdhsa_user_sgpr_kernarg_segment_ptr 1
		.amdhsa_user_sgpr_dispatch_id 0
		.amdhsa_user_sgpr_kernarg_preload_length 0
		.amdhsa_user_sgpr_kernarg_preload_offset 0
		.amdhsa_user_sgpr_private_segment_size 0
		.amdhsa_wavefront_size32 1
		.amdhsa_uses_dynamic_stack 0
		.amdhsa_enable_private_segment 0
		.amdhsa_system_sgpr_workgroup_id_x 1
		.amdhsa_system_sgpr_workgroup_id_y 0
		.amdhsa_system_sgpr_workgroup_id_z 0
		.amdhsa_system_sgpr_workgroup_info 0
		.amdhsa_system_vgpr_workitem_id 0
		.amdhsa_next_free_vgpr 2
		.amdhsa_next_free_sgpr 6
		.amdhsa_named_barrier_count 0
		.amdhsa_reserve_vcc 1
		.amdhsa_float_round_mode_32 0
		.amdhsa_float_round_mode_16_64 0
		.amdhsa_float_denorm_mode_32 3
		.amdhsa_float_denorm_mode_16_64 3
		.amdhsa_fp16_overflow 0
		.amdhsa_memory_ordered 1
		.amdhsa_forward_progress 1
		.amdhsa_inst_pref_size 1
		.amdhsa_round_robin_scheduling 0
		.amdhsa_exception_fp_ieee_invalid_op 0
		.amdhsa_exception_fp_denorm_src 0
		.amdhsa_exception_fp_ieee_div_zero 0
		.amdhsa_exception_fp_ieee_overflow 0
		.amdhsa_exception_fp_ieee_underflow 0
		.amdhsa_exception_fp_ieee_inexact 0
		.amdhsa_exception_int_div_zero 0
	.end_amdhsa_kernel
	.section	.text._Z21device_test_warp_maskILj31EEvP10TestStatus,"axG",@progbits,_Z21device_test_warp_maskILj31EEvP10TestStatus,comdat
.Lfunc_end80:
	.size	_Z21device_test_warp_maskILj31EEvP10TestStatus, .Lfunc_end80-_Z21device_test_warp_maskILj31EEvP10TestStatus
                                        ; -- End function
	.set _Z21device_test_warp_maskILj31EEvP10TestStatus.num_vgpr, 2
	.set _Z21device_test_warp_maskILj31EEvP10TestStatus.num_agpr, 0
	.set _Z21device_test_warp_maskILj31EEvP10TestStatus.numbered_sgpr, 6
	.set _Z21device_test_warp_maskILj31EEvP10TestStatus.num_named_barrier, 0
	.set _Z21device_test_warp_maskILj31EEvP10TestStatus.private_seg_size, 0
	.set _Z21device_test_warp_maskILj31EEvP10TestStatus.uses_vcc, 1
	.set _Z21device_test_warp_maskILj31EEvP10TestStatus.uses_flat_scratch, 0
	.set _Z21device_test_warp_maskILj31EEvP10TestStatus.has_dyn_sized_stack, 0
	.set _Z21device_test_warp_maskILj31EEvP10TestStatus.has_recursion, 0
	.set _Z21device_test_warp_maskILj31EEvP10TestStatus.has_indirect_call, 0
	.section	.AMDGPU.csdata,"",@progbits
; Kernel info:
; codeLenInByte = 96
; TotalNumSgprs: 8
; NumVgprs: 2
; ScratchSize: 0
; MemoryBound: 0
; FloatMode: 240
; IeeeMode: 1
; LDSByteSize: 0 bytes/workgroup (compile time only)
; SGPRBlocks: 0
; VGPRBlocks: 0
; NumSGPRsForWavesPerEU: 8
; NumVGPRsForWavesPerEU: 2
; NamedBarCnt: 0
; Occupancy: 16
; WaveLimiterHint : 0
; COMPUTE_PGM_RSRC2:SCRATCH_EN: 0
; COMPUTE_PGM_RSRC2:USER_SGPR: 2
; COMPUTE_PGM_RSRC2:TRAP_HANDLER: 0
; COMPUTE_PGM_RSRC2:TGID_X_EN: 1
; COMPUTE_PGM_RSRC2:TGID_Y_EN: 0
; COMPUTE_PGM_RSRC2:TGID_Z_EN: 0
; COMPUTE_PGM_RSRC2:TIDIG_COMP_CNT: 0
	.section	.text._Z21device_test_warp_maskILj32EEvP10TestStatus,"axG",@progbits,_Z21device_test_warp_maskILj32EEvP10TestStatus,comdat
	.protected	_Z21device_test_warp_maskILj32EEvP10TestStatus ; -- Begin function _Z21device_test_warp_maskILj32EEvP10TestStatus
	.globl	_Z21device_test_warp_maskILj32EEvP10TestStatus
	.p2align	8
	.type	_Z21device_test_warp_maskILj32EEvP10TestStatus,@function
_Z21device_test_warp_maskILj32EEvP10TestStatus: ; @_Z21device_test_warp_maskILj32EEvP10TestStatus
; %bb.0:
	s_mov_b32 s2, -1
	s_mov_b32 s5, 0
	s_delay_alu instid0(SALU_CYCLE_1)
	s_and_saveexec_b32 s4, s5
	s_cbranch_execnz .LBB81_3
; %bb.1:
	s_or_b32 exec_lo, exec_lo, s4
	v_mov_b32_e32 v1, 0
	s_and_saveexec_b32 s4, s2
	s_cbranch_execnz .LBB81_6
.LBB81_2:
	s_or_b32 exec_lo, exec_lo, s4
	s_load_b64 s[0:1], s[0:1], 0x0
	s_wait_kmcnt 0x0
	global_store_b8 v0, v1, s[0:1]
	s_endpgm
.LBB81_3:
	v_dual_mov_b32 v1, -4 :: v_dual_mov_b32 v3, 0
	s_mov_b32 s6, 3
	s_mov_b32 s7, 2
	s_mov_b32 s8, 1
	s_mov_b32 s9, 0
                                        ; implicit-def: $sgpr10
.LBB81_4:                               ; =>This Inner Loop Header: Depth=1
	s_lshl_b64 s[2:3], 1, s8
	s_delay_alu instid0(SALU_CYCLE_1) | instskip(SKIP_3) | instid1(VALU_DEP_2)
	v_dual_mov_b32 v9, v3 :: v_dual_mov_b32 v8, s2
	s_lshl_b64 s[14:15], 1, s7
	s_lshl_b64 s[16:17], 1, s6
	v_dual_mov_b32 v5, v3 :: v_dual_mov_b32 v7, v3
	v_cmp_ne_u64_e32 vcc_lo, 0, v[8:9]
	v_dual_mov_b32 v4, s14 :: v_dual_mov_b32 v2, s16
	s_lshl_b64 s[12:13], 1, s9
	s_add_co_i32 s9, s9, 4
	s_add_co_i32 s8, s8, 4
	;; [unrolled: 1-line block ×3, first 2 shown]
	v_cndmask_b32_e64 v8, 0, 1, vcc_lo
	v_cmp_ne_u64_e32 vcc_lo, 0, v[4:5]
	s_add_co_i32 s6, s6, 4
	v_cndmask_b32_e64 v4, 0, 1, vcc_lo
	v_cmp_ne_u64_e32 vcc_lo, 0, v[2:3]
	s_delay_alu instid0(VALU_DEP_2) | instskip(SKIP_1) | instid1(VALU_DEP_1)
	v_lshlrev_b16 v4, 2, v4
	v_cndmask_b32_e64 v2, 0, 1, vcc_lo
	v_lshlrev_b16 v2, 3, v2
	s_delay_alu instid0(VALU_DEP_1) | instskip(NEXT) | instid1(VALU_DEP_1)
	v_dual_mov_b32 v6, s12 :: v_dual_bitop2_b32 v2, v2, v4 bitop3:0x54
	v_cmp_ne_u64_e32 vcc_lo, 0, v[6:7]
	v_lshlrev_b16 v6, 1, v8
	v_cndmask_b32_e64 v5, 0, 1, vcc_lo
	v_cmp_eq_u32_e32 vcc_lo, 0, v1
	v_add_nc_u32_e32 v1, -4, v1
	s_delay_alu instid0(VALU_DEP_3) | instskip(NEXT) | instid1(VALU_DEP_1)
	v_bitop3_b16 v5, v5, 3, v6 bitop3:0xc8
	v_bitop3_b16 v2, v5, 15, v2 bitop3:0xc8
	s_delay_alu instid0(VALU_DEP_1) | instskip(SKIP_2) | instid1(SALU_CYCLE_1)
	v_cmp_ne_u16_e64 s2, 0, v2
	v_cmp_eq_u16_e64 s3, 0, v2
	s_or_b32 s2, s2, vcc_lo
	s_and_b32 s2, exec_lo, s2
	s_delay_alu instid0(SALU_CYCLE_1) | instskip(SKIP_2) | instid1(SALU_CYCLE_1)
	s_or_b32 s5, s2, s5
	s_and_not1_b32 s2, s10, exec_lo
	s_and_b32 s3, s3, exec_lo
	s_or_b32 s10, s2, s3
	s_and_not1_b32 exec_lo, exec_lo, s5
	s_cbranch_execnz .LBB81_4
; %bb.5:
	s_or_b32 exec_lo, exec_lo, s5
	s_delay_alu instid0(SALU_CYCLE_1)
	s_or_not1_b32 s2, s10, exec_lo
	s_or_b32 exec_lo, exec_lo, s4
	v_mov_b32_e32 v1, 0
	s_and_saveexec_b32 s4, s2
	s_cbranch_execz .LBB81_2
.LBB81_6:
	v_mbcnt_lo_u32_b32 v1, -1, 0
	s_mov_b32 s2, -1
	s_mov_b32 s3, exec_lo
	s_delay_alu instid0(VALU_DEP_1)
	v_cmpx_gt_u32_e32 0xffffffe0, v1
	s_cbranch_execz .LBB81_10
; %bb.7:
	v_dual_mov_b32 v4, 2 :: v_dual_mov_b32 v5, 3
	v_dual_mov_b32 v2, 0 :: v_dual_mov_b32 v3, 1
	s_mov_b32 s5, 0
	s_mov_b32 s6, 28
	s_delay_alu instid0(VALU_DEP_2) | instskip(NEXT) | instid1(VALU_DEP_2)
	v_mov_b64_e32 v[6:7], v[4:5]
                                        ; implicit-def: $sgpr7
	v_mov_b64_e32 v[4:5], v[2:3]
.LBB81_8:                               ; =>This Inner Loop Header: Depth=1
	s_delay_alu instid0(VALU_DEP_1) | instskip(SKIP_1) | instid1(VALU_DEP_4)
	v_lshlrev_b64_e64 v[8:9], v5, 1
	v_mov_b32_e32 v9, v2
	v_lshlrev_b64_e64 v[12:13], v6, 1
	v_mov_b32_e32 v13, v2
	;; [unrolled: 2-line block ×3, first 2 shown]
	v_lshlrev_b64_e64 v[10:11], v4, 1
	v_cmp_eq_u64_e32 vcc_lo, 0, v[8:9]
	v_mov_b32_e32 v11, v2
	s_cmp_eq_u32 s6, 0
	v_dual_add_nc_u32 v7, 4, v7 :: v_dual_add_nc_u32 v5, 4, v5
	s_cselect_b32 s8, -1, 0
	s_add_co_i32 s6, s6, -4
	v_cndmask_b32_e64 v1, 0, 1, vcc_lo
	v_cmp_eq_u64_e32 vcc_lo, 0, v[12:13]
	v_dual_add_nc_u32 v4, 4, v4 :: v_dual_add_nc_u32 v6, 4, v6
	s_delay_alu instid0(VALU_DEP_3) | instskip(SKIP_2) | instid1(VALU_DEP_2)
	v_lshlrev_b16 v1, 1, v1
	v_cndmask_b32_e64 v3, 0, 1, vcc_lo
	v_cmp_eq_u64_e32 vcc_lo, 0, v[14:15]
	v_lshlrev_b16 v3, 2, v3
	v_cndmask_b32_e64 v8, 0, 1, vcc_lo
	v_cmp_eq_u64_e32 vcc_lo, 0, v[10:11]
	s_delay_alu instid0(VALU_DEP_2) | instskip(SKIP_1) | instid1(VALU_DEP_2)
	v_lshlrev_b16 v8, 3, v8
	v_cndmask_b32_e64 v9, 0, 1, vcc_lo
	v_or_b32_e32 v3, v8, v3
	s_delay_alu instid0(VALU_DEP_2) | instskip(NEXT) | instid1(VALU_DEP_1)
	v_bitop3_b16 v1, v9, 3, v1 bitop3:0xc8
	v_bitop3_b16 v1, v1, 15, v3 bitop3:0xc8
	s_delay_alu instid0(VALU_DEP_1) | instskip(SKIP_2) | instid1(SALU_CYCLE_1)
	v_cmp_ne_u16_e32 vcc_lo, 0, v1
	v_cmp_eq_u16_e64 s2, 0, v1
	s_or_b32 s8, vcc_lo, s8
	s_and_b32 s8, exec_lo, s8
	s_delay_alu instid0(SALU_CYCLE_1) | instskip(SKIP_2) | instid1(SALU_CYCLE_1)
	s_or_b32 s5, s8, s5
	s_and_not1_b32 s7, s7, exec_lo
	s_and_b32 s2, s2, exec_lo
	s_or_b32 s7, s7, s2
	s_and_not1_b32 exec_lo, exec_lo, s5
	s_cbranch_execnz .LBB81_8
; %bb.9:
	s_or_b32 exec_lo, exec_lo, s5
	s_delay_alu instid0(SALU_CYCLE_1)
	s_or_not1_b32 s2, s7, exec_lo
.LBB81_10:
	s_or_b32 exec_lo, exec_lo, s3
	v_mov_b32_e32 v1, 0
	s_and_saveexec_b32 s5, s2
	s_cbranch_execz .LBB81_16
; %bb.11:
	s_mov_b32 s2, -1
	s_delay_alu instid0(SALU_CYCLE_1)
	s_and_saveexec_b32 s6, s2
	s_cbranch_execz .LBB81_15
; %bb.12:
	v_dual_mov_b32 v2, 32 :: v_dual_mov_b32 v3, 0
	s_mov_b32 s7, 0
                                        ; implicit-def: $sgpr8
	s_delay_alu instid0(VALU_DEP_1)
	v_mov_b64_e32 v[4:5], v[2:3]
.LBB81_13:                              ; =>This Inner Loop Header: Depth=1
	s_delay_alu instid0(VALU_DEP_1) | instskip(SKIP_2) | instid1(VALU_DEP_4)
	v_lshlrev_b64_e64 v[6:7], v4, 1
	v_mov_b32_e32 v7, v3
	v_cmp_lt_u32_e64 s2, 62, v4
	v_add_nc_u64_e32 v[4:5], 1, v[4:5]
	s_delay_alu instid0(VALU_DEP_3) | instskip(SKIP_2) | instid1(SALU_CYCLE_1)
	v_cmp_ne_u64_e32 vcc_lo, 0, v[6:7]
	v_cmp_eq_u64_e64 s3, 0, v[6:7]
	s_or_b32 s2, s2, vcc_lo
	s_and_b32 s2, exec_lo, s2
	s_delay_alu instid0(SALU_CYCLE_1) | instskip(SKIP_2) | instid1(SALU_CYCLE_1)
	s_or_b32 s7, s2, s7
	s_and_not1_b32 s2, s8, exec_lo
	s_and_b32 s3, s3, exec_lo
	s_or_b32 s8, s2, s3
	s_and_not1_b32 exec_lo, exec_lo, s7
	s_cbranch_execnz .LBB81_13
; %bb.14:
	s_or_b32 exec_lo, exec_lo, s7
	s_delay_alu instid0(SALU_CYCLE_1)
	s_or_not1_b32 s2, s8, exec_lo
.LBB81_15:
	s_or_b32 exec_lo, exec_lo, s6
	v_cndmask_b32_e64 v1, 0, 1, s2
.LBB81_16:
	s_or_b32 exec_lo, exec_lo, s5
	s_delay_alu instid0(SALU_CYCLE_1)
	s_or_b32 exec_lo, exec_lo, s4
	s_load_b64 s[0:1], s[0:1], 0x0
	s_wait_kmcnt 0x0
	global_store_b8 v0, v1, s[0:1]
	s_endpgm
	.section	.rodata,"a",@progbits
	.p2align	6, 0x0
	.amdhsa_kernel _Z21device_test_warp_maskILj32EEvP10TestStatus
		.amdhsa_group_segment_fixed_size 0
		.amdhsa_private_segment_fixed_size 0
		.amdhsa_kernarg_size 8
		.amdhsa_user_sgpr_count 2
		.amdhsa_user_sgpr_dispatch_ptr 0
		.amdhsa_user_sgpr_queue_ptr 0
		.amdhsa_user_sgpr_kernarg_segment_ptr 1
		.amdhsa_user_sgpr_dispatch_id 0
		.amdhsa_user_sgpr_kernarg_preload_length 0
		.amdhsa_user_sgpr_kernarg_preload_offset 0
		.amdhsa_user_sgpr_private_segment_size 0
		.amdhsa_wavefront_size32 1
		.amdhsa_uses_dynamic_stack 0
		.amdhsa_enable_private_segment 0
		.amdhsa_system_sgpr_workgroup_id_x 1
		.amdhsa_system_sgpr_workgroup_id_y 0
		.amdhsa_system_sgpr_workgroup_id_z 0
		.amdhsa_system_sgpr_workgroup_info 0
		.amdhsa_system_vgpr_workitem_id 0
		.amdhsa_next_free_vgpr 16
		.amdhsa_next_free_sgpr 18
		.amdhsa_named_barrier_count 0
		.amdhsa_reserve_vcc 1
		.amdhsa_float_round_mode_32 0
		.amdhsa_float_round_mode_16_64 0
		.amdhsa_float_denorm_mode_32 3
		.amdhsa_float_denorm_mode_16_64 3
		.amdhsa_fp16_overflow 0
		.amdhsa_memory_ordered 1
		.amdhsa_forward_progress 1
		.amdhsa_inst_pref_size 7
		.amdhsa_round_robin_scheduling 0
		.amdhsa_exception_fp_ieee_invalid_op 0
		.amdhsa_exception_fp_denorm_src 0
		.amdhsa_exception_fp_ieee_div_zero 0
		.amdhsa_exception_fp_ieee_overflow 0
		.amdhsa_exception_fp_ieee_underflow 0
		.amdhsa_exception_fp_ieee_inexact 0
		.amdhsa_exception_int_div_zero 0
	.end_amdhsa_kernel
	.section	.text._Z21device_test_warp_maskILj32EEvP10TestStatus,"axG",@progbits,_Z21device_test_warp_maskILj32EEvP10TestStatus,comdat
.Lfunc_end81:
	.size	_Z21device_test_warp_maskILj32EEvP10TestStatus, .Lfunc_end81-_Z21device_test_warp_maskILj32EEvP10TestStatus
                                        ; -- End function
	.set _Z21device_test_warp_maskILj32EEvP10TestStatus.num_vgpr, 16
	.set _Z21device_test_warp_maskILj32EEvP10TestStatus.num_agpr, 0
	.set _Z21device_test_warp_maskILj32EEvP10TestStatus.numbered_sgpr, 18
	.set _Z21device_test_warp_maskILj32EEvP10TestStatus.num_named_barrier, 0
	.set _Z21device_test_warp_maskILj32EEvP10TestStatus.private_seg_size, 0
	.set _Z21device_test_warp_maskILj32EEvP10TestStatus.uses_vcc, 1
	.set _Z21device_test_warp_maskILj32EEvP10TestStatus.uses_flat_scratch, 0
	.set _Z21device_test_warp_maskILj32EEvP10TestStatus.has_dyn_sized_stack, 0
	.set _Z21device_test_warp_maskILj32EEvP10TestStatus.has_recursion, 0
	.set _Z21device_test_warp_maskILj32EEvP10TestStatus.has_indirect_call, 0
	.section	.AMDGPU.csdata,"",@progbits
; Kernel info:
; codeLenInByte = 888
; TotalNumSgprs: 20
; NumVgprs: 16
; ScratchSize: 0
; MemoryBound: 0
; FloatMode: 240
; IeeeMode: 1
; LDSByteSize: 0 bytes/workgroup (compile time only)
; SGPRBlocks: 0
; VGPRBlocks: 0
; NumSGPRsForWavesPerEU: 20
; NumVGPRsForWavesPerEU: 16
; NamedBarCnt: 0
; Occupancy: 16
; WaveLimiterHint : 0
; COMPUTE_PGM_RSRC2:SCRATCH_EN: 0
; COMPUTE_PGM_RSRC2:USER_SGPR: 2
; COMPUTE_PGM_RSRC2:TRAP_HANDLER: 0
; COMPUTE_PGM_RSRC2:TGID_X_EN: 1
; COMPUTE_PGM_RSRC2:TGID_Y_EN: 0
; COMPUTE_PGM_RSRC2:TGID_Z_EN: 0
; COMPUTE_PGM_RSRC2:TIDIG_COMP_CNT: 0
	.section	.text._Z21device_test_warp_maskILj33EEvP10TestStatus,"axG",@progbits,_Z21device_test_warp_maskILj33EEvP10TestStatus,comdat
	.protected	_Z21device_test_warp_maskILj33EEvP10TestStatus ; -- Begin function _Z21device_test_warp_maskILj33EEvP10TestStatus
	.globl	_Z21device_test_warp_maskILj33EEvP10TestStatus
	.p2align	8
	.type	_Z21device_test_warp_maskILj33EEvP10TestStatus,@function
_Z21device_test_warp_maskILj33EEvP10TestStatus: ; @_Z21device_test_warp_maskILj33EEvP10TestStatus
; %bb.0:
	s_load_b64 s[0:1], s[0:1], 0x0
	v_mov_b32_e32 v1, 1
	s_wait_kmcnt 0x0
	global_store_b8 v0, v1, s[0:1]
	s_endpgm
	.section	.rodata,"a",@progbits
	.p2align	6, 0x0
	.amdhsa_kernel _Z21device_test_warp_maskILj33EEvP10TestStatus
		.amdhsa_group_segment_fixed_size 0
		.amdhsa_private_segment_fixed_size 0
		.amdhsa_kernarg_size 8
		.amdhsa_user_sgpr_count 2
		.amdhsa_user_sgpr_dispatch_ptr 0
		.amdhsa_user_sgpr_queue_ptr 0
		.amdhsa_user_sgpr_kernarg_segment_ptr 1
		.amdhsa_user_sgpr_dispatch_id 0
		.amdhsa_user_sgpr_kernarg_preload_length 0
		.amdhsa_user_sgpr_kernarg_preload_offset 0
		.amdhsa_user_sgpr_private_segment_size 0
		.amdhsa_wavefront_size32 1
		.amdhsa_uses_dynamic_stack 0
		.amdhsa_enable_private_segment 0
		.amdhsa_system_sgpr_workgroup_id_x 1
		.amdhsa_system_sgpr_workgroup_id_y 0
		.amdhsa_system_sgpr_workgroup_id_z 0
		.amdhsa_system_sgpr_workgroup_info 0
		.amdhsa_system_vgpr_workitem_id 0
		.amdhsa_next_free_vgpr 2
		.amdhsa_next_free_sgpr 2
		.amdhsa_named_barrier_count 0
		.amdhsa_reserve_vcc 0
		.amdhsa_float_round_mode_32 0
		.amdhsa_float_round_mode_16_64 0
		.amdhsa_float_denorm_mode_32 3
		.amdhsa_float_denorm_mode_16_64 3
		.amdhsa_fp16_overflow 0
		.amdhsa_memory_ordered 1
		.amdhsa_forward_progress 1
		.amdhsa_inst_pref_size 1
		.amdhsa_round_robin_scheduling 0
		.amdhsa_exception_fp_ieee_invalid_op 0
		.amdhsa_exception_fp_denorm_src 0
		.amdhsa_exception_fp_ieee_div_zero 0
		.amdhsa_exception_fp_ieee_overflow 0
		.amdhsa_exception_fp_ieee_underflow 0
		.amdhsa_exception_fp_ieee_inexact 0
		.amdhsa_exception_int_div_zero 0
	.end_amdhsa_kernel
	.section	.text._Z21device_test_warp_maskILj33EEvP10TestStatus,"axG",@progbits,_Z21device_test_warp_maskILj33EEvP10TestStatus,comdat
.Lfunc_end82:
	.size	_Z21device_test_warp_maskILj33EEvP10TestStatus, .Lfunc_end82-_Z21device_test_warp_maskILj33EEvP10TestStatus
                                        ; -- End function
	.set _Z21device_test_warp_maskILj33EEvP10TestStatus.num_vgpr, 2
	.set _Z21device_test_warp_maskILj33EEvP10TestStatus.num_agpr, 0
	.set _Z21device_test_warp_maskILj33EEvP10TestStatus.numbered_sgpr, 2
	.set _Z21device_test_warp_maskILj33EEvP10TestStatus.num_named_barrier, 0
	.set _Z21device_test_warp_maskILj33EEvP10TestStatus.private_seg_size, 0
	.set _Z21device_test_warp_maskILj33EEvP10TestStatus.uses_vcc, 0
	.set _Z21device_test_warp_maskILj33EEvP10TestStatus.uses_flat_scratch, 0
	.set _Z21device_test_warp_maskILj33EEvP10TestStatus.has_dyn_sized_stack, 0
	.set _Z21device_test_warp_maskILj33EEvP10TestStatus.has_recursion, 0
	.set _Z21device_test_warp_maskILj33EEvP10TestStatus.has_indirect_call, 0
	.section	.AMDGPU.csdata,"",@progbits
; Kernel info:
; codeLenInByte = 32
; TotalNumSgprs: 2
; NumVgprs: 2
; ScratchSize: 0
; MemoryBound: 0
; FloatMode: 240
; IeeeMode: 1
; LDSByteSize: 0 bytes/workgroup (compile time only)
; SGPRBlocks: 0
; VGPRBlocks: 0
; NumSGPRsForWavesPerEU: 2
; NumVGPRsForWavesPerEU: 2
; NamedBarCnt: 0
; Occupancy: 16
; WaveLimiterHint : 0
; COMPUTE_PGM_RSRC2:SCRATCH_EN: 0
; COMPUTE_PGM_RSRC2:USER_SGPR: 2
; COMPUTE_PGM_RSRC2:TRAP_HANDLER: 0
; COMPUTE_PGM_RSRC2:TGID_X_EN: 1
; COMPUTE_PGM_RSRC2:TGID_Y_EN: 0
; COMPUTE_PGM_RSRC2:TGID_Z_EN: 0
; COMPUTE_PGM_RSRC2:TIDIG_COMP_CNT: 0
	.section	.text._Z21device_test_warp_maskILj34EEvP10TestStatus,"axG",@progbits,_Z21device_test_warp_maskILj34EEvP10TestStatus,comdat
	.protected	_Z21device_test_warp_maskILj34EEvP10TestStatus ; -- Begin function _Z21device_test_warp_maskILj34EEvP10TestStatus
	.globl	_Z21device_test_warp_maskILj34EEvP10TestStatus
	.p2align	8
	.type	_Z21device_test_warp_maskILj34EEvP10TestStatus,@function
_Z21device_test_warp_maskILj34EEvP10TestStatus: ; @_Z21device_test_warp_maskILj34EEvP10TestStatus
; %bb.0:
	s_load_b64 s[0:1], s[0:1], 0x0
	v_mov_b32_e32 v1, 1
	s_wait_kmcnt 0x0
	global_store_b8 v0, v1, s[0:1]
	s_endpgm
	.section	.rodata,"a",@progbits
	.p2align	6, 0x0
	.amdhsa_kernel _Z21device_test_warp_maskILj34EEvP10TestStatus
		.amdhsa_group_segment_fixed_size 0
		.amdhsa_private_segment_fixed_size 0
		.amdhsa_kernarg_size 8
		.amdhsa_user_sgpr_count 2
		.amdhsa_user_sgpr_dispatch_ptr 0
		.amdhsa_user_sgpr_queue_ptr 0
		.amdhsa_user_sgpr_kernarg_segment_ptr 1
		.amdhsa_user_sgpr_dispatch_id 0
		.amdhsa_user_sgpr_kernarg_preload_length 0
		.amdhsa_user_sgpr_kernarg_preload_offset 0
		.amdhsa_user_sgpr_private_segment_size 0
		.amdhsa_wavefront_size32 1
		.amdhsa_uses_dynamic_stack 0
		.amdhsa_enable_private_segment 0
		.amdhsa_system_sgpr_workgroup_id_x 1
		.amdhsa_system_sgpr_workgroup_id_y 0
		.amdhsa_system_sgpr_workgroup_id_z 0
		.amdhsa_system_sgpr_workgroup_info 0
		.amdhsa_system_vgpr_workitem_id 0
		.amdhsa_next_free_vgpr 2
		.amdhsa_next_free_sgpr 2
		.amdhsa_named_barrier_count 0
		.amdhsa_reserve_vcc 0
		.amdhsa_float_round_mode_32 0
		.amdhsa_float_round_mode_16_64 0
		.amdhsa_float_denorm_mode_32 3
		.amdhsa_float_denorm_mode_16_64 3
		.amdhsa_fp16_overflow 0
		.amdhsa_memory_ordered 1
		.amdhsa_forward_progress 1
		.amdhsa_inst_pref_size 1
		.amdhsa_round_robin_scheduling 0
		.amdhsa_exception_fp_ieee_invalid_op 0
		.amdhsa_exception_fp_denorm_src 0
		.amdhsa_exception_fp_ieee_div_zero 0
		.amdhsa_exception_fp_ieee_overflow 0
		.amdhsa_exception_fp_ieee_underflow 0
		.amdhsa_exception_fp_ieee_inexact 0
		.amdhsa_exception_int_div_zero 0
	.end_amdhsa_kernel
	.section	.text._Z21device_test_warp_maskILj34EEvP10TestStatus,"axG",@progbits,_Z21device_test_warp_maskILj34EEvP10TestStatus,comdat
.Lfunc_end83:
	.size	_Z21device_test_warp_maskILj34EEvP10TestStatus, .Lfunc_end83-_Z21device_test_warp_maskILj34EEvP10TestStatus
                                        ; -- End function
	.set _Z21device_test_warp_maskILj34EEvP10TestStatus.num_vgpr, 2
	.set _Z21device_test_warp_maskILj34EEvP10TestStatus.num_agpr, 0
	.set _Z21device_test_warp_maskILj34EEvP10TestStatus.numbered_sgpr, 2
	.set _Z21device_test_warp_maskILj34EEvP10TestStatus.num_named_barrier, 0
	.set _Z21device_test_warp_maskILj34EEvP10TestStatus.private_seg_size, 0
	.set _Z21device_test_warp_maskILj34EEvP10TestStatus.uses_vcc, 0
	.set _Z21device_test_warp_maskILj34EEvP10TestStatus.uses_flat_scratch, 0
	.set _Z21device_test_warp_maskILj34EEvP10TestStatus.has_dyn_sized_stack, 0
	.set _Z21device_test_warp_maskILj34EEvP10TestStatus.has_recursion, 0
	.set _Z21device_test_warp_maskILj34EEvP10TestStatus.has_indirect_call, 0
	.section	.AMDGPU.csdata,"",@progbits
; Kernel info:
; codeLenInByte = 32
; TotalNumSgprs: 2
; NumVgprs: 2
; ScratchSize: 0
; MemoryBound: 0
; FloatMode: 240
; IeeeMode: 1
; LDSByteSize: 0 bytes/workgroup (compile time only)
; SGPRBlocks: 0
; VGPRBlocks: 0
; NumSGPRsForWavesPerEU: 2
; NumVGPRsForWavesPerEU: 2
; NamedBarCnt: 0
; Occupancy: 16
; WaveLimiterHint : 0
; COMPUTE_PGM_RSRC2:SCRATCH_EN: 0
; COMPUTE_PGM_RSRC2:USER_SGPR: 2
; COMPUTE_PGM_RSRC2:TRAP_HANDLER: 0
; COMPUTE_PGM_RSRC2:TGID_X_EN: 1
; COMPUTE_PGM_RSRC2:TGID_Y_EN: 0
; COMPUTE_PGM_RSRC2:TGID_Z_EN: 0
; COMPUTE_PGM_RSRC2:TIDIG_COMP_CNT: 0
	.section	.text._Z21device_test_warp_maskILj35EEvP10TestStatus,"axG",@progbits,_Z21device_test_warp_maskILj35EEvP10TestStatus,comdat
	.protected	_Z21device_test_warp_maskILj35EEvP10TestStatus ; -- Begin function _Z21device_test_warp_maskILj35EEvP10TestStatus
	.globl	_Z21device_test_warp_maskILj35EEvP10TestStatus
	.p2align	8
	.type	_Z21device_test_warp_maskILj35EEvP10TestStatus,@function
_Z21device_test_warp_maskILj35EEvP10TestStatus: ; @_Z21device_test_warp_maskILj35EEvP10TestStatus
; %bb.0:
	s_load_b64 s[0:1], s[0:1], 0x0
	v_mov_b32_e32 v1, 1
	s_wait_kmcnt 0x0
	global_store_b8 v0, v1, s[0:1]
	s_endpgm
	.section	.rodata,"a",@progbits
	.p2align	6, 0x0
	.amdhsa_kernel _Z21device_test_warp_maskILj35EEvP10TestStatus
		.amdhsa_group_segment_fixed_size 0
		.amdhsa_private_segment_fixed_size 0
		.amdhsa_kernarg_size 8
		.amdhsa_user_sgpr_count 2
		.amdhsa_user_sgpr_dispatch_ptr 0
		.amdhsa_user_sgpr_queue_ptr 0
		.amdhsa_user_sgpr_kernarg_segment_ptr 1
		.amdhsa_user_sgpr_dispatch_id 0
		.amdhsa_user_sgpr_kernarg_preload_length 0
		.amdhsa_user_sgpr_kernarg_preload_offset 0
		.amdhsa_user_sgpr_private_segment_size 0
		.amdhsa_wavefront_size32 1
		.amdhsa_uses_dynamic_stack 0
		.amdhsa_enable_private_segment 0
		.amdhsa_system_sgpr_workgroup_id_x 1
		.amdhsa_system_sgpr_workgroup_id_y 0
		.amdhsa_system_sgpr_workgroup_id_z 0
		.amdhsa_system_sgpr_workgroup_info 0
		.amdhsa_system_vgpr_workitem_id 0
		.amdhsa_next_free_vgpr 2
		.amdhsa_next_free_sgpr 2
		.amdhsa_named_barrier_count 0
		.amdhsa_reserve_vcc 0
		.amdhsa_float_round_mode_32 0
		.amdhsa_float_round_mode_16_64 0
		.amdhsa_float_denorm_mode_32 3
		.amdhsa_float_denorm_mode_16_64 3
		.amdhsa_fp16_overflow 0
		.amdhsa_memory_ordered 1
		.amdhsa_forward_progress 1
		.amdhsa_inst_pref_size 1
		.amdhsa_round_robin_scheduling 0
		.amdhsa_exception_fp_ieee_invalid_op 0
		.amdhsa_exception_fp_denorm_src 0
		.amdhsa_exception_fp_ieee_div_zero 0
		.amdhsa_exception_fp_ieee_overflow 0
		.amdhsa_exception_fp_ieee_underflow 0
		.amdhsa_exception_fp_ieee_inexact 0
		.amdhsa_exception_int_div_zero 0
	.end_amdhsa_kernel
	.section	.text._Z21device_test_warp_maskILj35EEvP10TestStatus,"axG",@progbits,_Z21device_test_warp_maskILj35EEvP10TestStatus,comdat
.Lfunc_end84:
	.size	_Z21device_test_warp_maskILj35EEvP10TestStatus, .Lfunc_end84-_Z21device_test_warp_maskILj35EEvP10TestStatus
                                        ; -- End function
	.set _Z21device_test_warp_maskILj35EEvP10TestStatus.num_vgpr, 2
	.set _Z21device_test_warp_maskILj35EEvP10TestStatus.num_agpr, 0
	.set _Z21device_test_warp_maskILj35EEvP10TestStatus.numbered_sgpr, 2
	.set _Z21device_test_warp_maskILj35EEvP10TestStatus.num_named_barrier, 0
	.set _Z21device_test_warp_maskILj35EEvP10TestStatus.private_seg_size, 0
	.set _Z21device_test_warp_maskILj35EEvP10TestStatus.uses_vcc, 0
	.set _Z21device_test_warp_maskILj35EEvP10TestStatus.uses_flat_scratch, 0
	.set _Z21device_test_warp_maskILj35EEvP10TestStatus.has_dyn_sized_stack, 0
	.set _Z21device_test_warp_maskILj35EEvP10TestStatus.has_recursion, 0
	.set _Z21device_test_warp_maskILj35EEvP10TestStatus.has_indirect_call, 0
	.section	.AMDGPU.csdata,"",@progbits
; Kernel info:
; codeLenInByte = 32
; TotalNumSgprs: 2
; NumVgprs: 2
; ScratchSize: 0
; MemoryBound: 0
; FloatMode: 240
; IeeeMode: 1
; LDSByteSize: 0 bytes/workgroup (compile time only)
; SGPRBlocks: 0
; VGPRBlocks: 0
; NumSGPRsForWavesPerEU: 2
; NumVGPRsForWavesPerEU: 2
; NamedBarCnt: 0
; Occupancy: 16
; WaveLimiterHint : 0
; COMPUTE_PGM_RSRC2:SCRATCH_EN: 0
; COMPUTE_PGM_RSRC2:USER_SGPR: 2
; COMPUTE_PGM_RSRC2:TRAP_HANDLER: 0
; COMPUTE_PGM_RSRC2:TGID_X_EN: 1
; COMPUTE_PGM_RSRC2:TGID_Y_EN: 0
; COMPUTE_PGM_RSRC2:TGID_Z_EN: 0
; COMPUTE_PGM_RSRC2:TIDIG_COMP_CNT: 0
	.section	.text._Z21device_test_warp_maskILj36EEvP10TestStatus,"axG",@progbits,_Z21device_test_warp_maskILj36EEvP10TestStatus,comdat
	.protected	_Z21device_test_warp_maskILj36EEvP10TestStatus ; -- Begin function _Z21device_test_warp_maskILj36EEvP10TestStatus
	.globl	_Z21device_test_warp_maskILj36EEvP10TestStatus
	.p2align	8
	.type	_Z21device_test_warp_maskILj36EEvP10TestStatus,@function
_Z21device_test_warp_maskILj36EEvP10TestStatus: ; @_Z21device_test_warp_maskILj36EEvP10TestStatus
; %bb.0:
	s_load_b64 s[0:1], s[0:1], 0x0
	v_mov_b32_e32 v1, 1
	s_wait_kmcnt 0x0
	global_store_b8 v0, v1, s[0:1]
	s_endpgm
	.section	.rodata,"a",@progbits
	.p2align	6, 0x0
	.amdhsa_kernel _Z21device_test_warp_maskILj36EEvP10TestStatus
		.amdhsa_group_segment_fixed_size 0
		.amdhsa_private_segment_fixed_size 0
		.amdhsa_kernarg_size 8
		.amdhsa_user_sgpr_count 2
		.amdhsa_user_sgpr_dispatch_ptr 0
		.amdhsa_user_sgpr_queue_ptr 0
		.amdhsa_user_sgpr_kernarg_segment_ptr 1
		.amdhsa_user_sgpr_dispatch_id 0
		.amdhsa_user_sgpr_kernarg_preload_length 0
		.amdhsa_user_sgpr_kernarg_preload_offset 0
		.amdhsa_user_sgpr_private_segment_size 0
		.amdhsa_wavefront_size32 1
		.amdhsa_uses_dynamic_stack 0
		.amdhsa_enable_private_segment 0
		.amdhsa_system_sgpr_workgroup_id_x 1
		.amdhsa_system_sgpr_workgroup_id_y 0
		.amdhsa_system_sgpr_workgroup_id_z 0
		.amdhsa_system_sgpr_workgroup_info 0
		.amdhsa_system_vgpr_workitem_id 0
		.amdhsa_next_free_vgpr 2
		.amdhsa_next_free_sgpr 2
		.amdhsa_named_barrier_count 0
		.amdhsa_reserve_vcc 0
		.amdhsa_float_round_mode_32 0
		.amdhsa_float_round_mode_16_64 0
		.amdhsa_float_denorm_mode_32 3
		.amdhsa_float_denorm_mode_16_64 3
		.amdhsa_fp16_overflow 0
		.amdhsa_memory_ordered 1
		.amdhsa_forward_progress 1
		.amdhsa_inst_pref_size 1
		.amdhsa_round_robin_scheduling 0
		.amdhsa_exception_fp_ieee_invalid_op 0
		.amdhsa_exception_fp_denorm_src 0
		.amdhsa_exception_fp_ieee_div_zero 0
		.amdhsa_exception_fp_ieee_overflow 0
		.amdhsa_exception_fp_ieee_underflow 0
		.amdhsa_exception_fp_ieee_inexact 0
		.amdhsa_exception_int_div_zero 0
	.end_amdhsa_kernel
	.section	.text._Z21device_test_warp_maskILj36EEvP10TestStatus,"axG",@progbits,_Z21device_test_warp_maskILj36EEvP10TestStatus,comdat
.Lfunc_end85:
	.size	_Z21device_test_warp_maskILj36EEvP10TestStatus, .Lfunc_end85-_Z21device_test_warp_maskILj36EEvP10TestStatus
                                        ; -- End function
	.set _Z21device_test_warp_maskILj36EEvP10TestStatus.num_vgpr, 2
	.set _Z21device_test_warp_maskILj36EEvP10TestStatus.num_agpr, 0
	.set _Z21device_test_warp_maskILj36EEvP10TestStatus.numbered_sgpr, 2
	.set _Z21device_test_warp_maskILj36EEvP10TestStatus.num_named_barrier, 0
	.set _Z21device_test_warp_maskILj36EEvP10TestStatus.private_seg_size, 0
	.set _Z21device_test_warp_maskILj36EEvP10TestStatus.uses_vcc, 0
	.set _Z21device_test_warp_maskILj36EEvP10TestStatus.uses_flat_scratch, 0
	.set _Z21device_test_warp_maskILj36EEvP10TestStatus.has_dyn_sized_stack, 0
	.set _Z21device_test_warp_maskILj36EEvP10TestStatus.has_recursion, 0
	.set _Z21device_test_warp_maskILj36EEvP10TestStatus.has_indirect_call, 0
	.section	.AMDGPU.csdata,"",@progbits
; Kernel info:
; codeLenInByte = 32
; TotalNumSgprs: 2
; NumVgprs: 2
; ScratchSize: 0
; MemoryBound: 0
; FloatMode: 240
; IeeeMode: 1
; LDSByteSize: 0 bytes/workgroup (compile time only)
; SGPRBlocks: 0
; VGPRBlocks: 0
; NumSGPRsForWavesPerEU: 2
; NumVGPRsForWavesPerEU: 2
; NamedBarCnt: 0
; Occupancy: 16
; WaveLimiterHint : 0
; COMPUTE_PGM_RSRC2:SCRATCH_EN: 0
; COMPUTE_PGM_RSRC2:USER_SGPR: 2
; COMPUTE_PGM_RSRC2:TRAP_HANDLER: 0
; COMPUTE_PGM_RSRC2:TGID_X_EN: 1
; COMPUTE_PGM_RSRC2:TGID_Y_EN: 0
; COMPUTE_PGM_RSRC2:TGID_Z_EN: 0
; COMPUTE_PGM_RSRC2:TIDIG_COMP_CNT: 0
	.section	.text._Z21device_test_warp_maskILj37EEvP10TestStatus,"axG",@progbits,_Z21device_test_warp_maskILj37EEvP10TestStatus,comdat
	.protected	_Z21device_test_warp_maskILj37EEvP10TestStatus ; -- Begin function _Z21device_test_warp_maskILj37EEvP10TestStatus
	.globl	_Z21device_test_warp_maskILj37EEvP10TestStatus
	.p2align	8
	.type	_Z21device_test_warp_maskILj37EEvP10TestStatus,@function
_Z21device_test_warp_maskILj37EEvP10TestStatus: ; @_Z21device_test_warp_maskILj37EEvP10TestStatus
; %bb.0:
	s_load_b64 s[0:1], s[0:1], 0x0
	v_mov_b32_e32 v1, 1
	s_wait_kmcnt 0x0
	global_store_b8 v0, v1, s[0:1]
	s_endpgm
	.section	.rodata,"a",@progbits
	.p2align	6, 0x0
	.amdhsa_kernel _Z21device_test_warp_maskILj37EEvP10TestStatus
		.amdhsa_group_segment_fixed_size 0
		.amdhsa_private_segment_fixed_size 0
		.amdhsa_kernarg_size 8
		.amdhsa_user_sgpr_count 2
		.amdhsa_user_sgpr_dispatch_ptr 0
		.amdhsa_user_sgpr_queue_ptr 0
		.amdhsa_user_sgpr_kernarg_segment_ptr 1
		.amdhsa_user_sgpr_dispatch_id 0
		.amdhsa_user_sgpr_kernarg_preload_length 0
		.amdhsa_user_sgpr_kernarg_preload_offset 0
		.amdhsa_user_sgpr_private_segment_size 0
		.amdhsa_wavefront_size32 1
		.amdhsa_uses_dynamic_stack 0
		.amdhsa_enable_private_segment 0
		.amdhsa_system_sgpr_workgroup_id_x 1
		.amdhsa_system_sgpr_workgroup_id_y 0
		.amdhsa_system_sgpr_workgroup_id_z 0
		.amdhsa_system_sgpr_workgroup_info 0
		.amdhsa_system_vgpr_workitem_id 0
		.amdhsa_next_free_vgpr 2
		.amdhsa_next_free_sgpr 2
		.amdhsa_named_barrier_count 0
		.amdhsa_reserve_vcc 0
		.amdhsa_float_round_mode_32 0
		.amdhsa_float_round_mode_16_64 0
		.amdhsa_float_denorm_mode_32 3
		.amdhsa_float_denorm_mode_16_64 3
		.amdhsa_fp16_overflow 0
		.amdhsa_memory_ordered 1
		.amdhsa_forward_progress 1
		.amdhsa_inst_pref_size 1
		.amdhsa_round_robin_scheduling 0
		.amdhsa_exception_fp_ieee_invalid_op 0
		.amdhsa_exception_fp_denorm_src 0
		.amdhsa_exception_fp_ieee_div_zero 0
		.amdhsa_exception_fp_ieee_overflow 0
		.amdhsa_exception_fp_ieee_underflow 0
		.amdhsa_exception_fp_ieee_inexact 0
		.amdhsa_exception_int_div_zero 0
	.end_amdhsa_kernel
	.section	.text._Z21device_test_warp_maskILj37EEvP10TestStatus,"axG",@progbits,_Z21device_test_warp_maskILj37EEvP10TestStatus,comdat
.Lfunc_end86:
	.size	_Z21device_test_warp_maskILj37EEvP10TestStatus, .Lfunc_end86-_Z21device_test_warp_maskILj37EEvP10TestStatus
                                        ; -- End function
	.set _Z21device_test_warp_maskILj37EEvP10TestStatus.num_vgpr, 2
	.set _Z21device_test_warp_maskILj37EEvP10TestStatus.num_agpr, 0
	.set _Z21device_test_warp_maskILj37EEvP10TestStatus.numbered_sgpr, 2
	.set _Z21device_test_warp_maskILj37EEvP10TestStatus.num_named_barrier, 0
	.set _Z21device_test_warp_maskILj37EEvP10TestStatus.private_seg_size, 0
	.set _Z21device_test_warp_maskILj37EEvP10TestStatus.uses_vcc, 0
	.set _Z21device_test_warp_maskILj37EEvP10TestStatus.uses_flat_scratch, 0
	.set _Z21device_test_warp_maskILj37EEvP10TestStatus.has_dyn_sized_stack, 0
	.set _Z21device_test_warp_maskILj37EEvP10TestStatus.has_recursion, 0
	.set _Z21device_test_warp_maskILj37EEvP10TestStatus.has_indirect_call, 0
	.section	.AMDGPU.csdata,"",@progbits
; Kernel info:
; codeLenInByte = 32
; TotalNumSgprs: 2
; NumVgprs: 2
; ScratchSize: 0
; MemoryBound: 0
; FloatMode: 240
; IeeeMode: 1
; LDSByteSize: 0 bytes/workgroup (compile time only)
; SGPRBlocks: 0
; VGPRBlocks: 0
; NumSGPRsForWavesPerEU: 2
; NumVGPRsForWavesPerEU: 2
; NamedBarCnt: 0
; Occupancy: 16
; WaveLimiterHint : 0
; COMPUTE_PGM_RSRC2:SCRATCH_EN: 0
; COMPUTE_PGM_RSRC2:USER_SGPR: 2
; COMPUTE_PGM_RSRC2:TRAP_HANDLER: 0
; COMPUTE_PGM_RSRC2:TGID_X_EN: 1
; COMPUTE_PGM_RSRC2:TGID_Y_EN: 0
; COMPUTE_PGM_RSRC2:TGID_Z_EN: 0
; COMPUTE_PGM_RSRC2:TIDIG_COMP_CNT: 0
	.section	.text._Z21device_test_warp_maskILj38EEvP10TestStatus,"axG",@progbits,_Z21device_test_warp_maskILj38EEvP10TestStatus,comdat
	.protected	_Z21device_test_warp_maskILj38EEvP10TestStatus ; -- Begin function _Z21device_test_warp_maskILj38EEvP10TestStatus
	.globl	_Z21device_test_warp_maskILj38EEvP10TestStatus
	.p2align	8
	.type	_Z21device_test_warp_maskILj38EEvP10TestStatus,@function
_Z21device_test_warp_maskILj38EEvP10TestStatus: ; @_Z21device_test_warp_maskILj38EEvP10TestStatus
; %bb.0:
	s_load_b64 s[0:1], s[0:1], 0x0
	v_mov_b32_e32 v1, 1
	s_wait_kmcnt 0x0
	global_store_b8 v0, v1, s[0:1]
	s_endpgm
	.section	.rodata,"a",@progbits
	.p2align	6, 0x0
	.amdhsa_kernel _Z21device_test_warp_maskILj38EEvP10TestStatus
		.amdhsa_group_segment_fixed_size 0
		.amdhsa_private_segment_fixed_size 0
		.amdhsa_kernarg_size 8
		.amdhsa_user_sgpr_count 2
		.amdhsa_user_sgpr_dispatch_ptr 0
		.amdhsa_user_sgpr_queue_ptr 0
		.amdhsa_user_sgpr_kernarg_segment_ptr 1
		.amdhsa_user_sgpr_dispatch_id 0
		.amdhsa_user_sgpr_kernarg_preload_length 0
		.amdhsa_user_sgpr_kernarg_preload_offset 0
		.amdhsa_user_sgpr_private_segment_size 0
		.amdhsa_wavefront_size32 1
		.amdhsa_uses_dynamic_stack 0
		.amdhsa_enable_private_segment 0
		.amdhsa_system_sgpr_workgroup_id_x 1
		.amdhsa_system_sgpr_workgroup_id_y 0
		.amdhsa_system_sgpr_workgroup_id_z 0
		.amdhsa_system_sgpr_workgroup_info 0
		.amdhsa_system_vgpr_workitem_id 0
		.amdhsa_next_free_vgpr 2
		.amdhsa_next_free_sgpr 2
		.amdhsa_named_barrier_count 0
		.amdhsa_reserve_vcc 0
		.amdhsa_float_round_mode_32 0
		.amdhsa_float_round_mode_16_64 0
		.amdhsa_float_denorm_mode_32 3
		.amdhsa_float_denorm_mode_16_64 3
		.amdhsa_fp16_overflow 0
		.amdhsa_memory_ordered 1
		.amdhsa_forward_progress 1
		.amdhsa_inst_pref_size 1
		.amdhsa_round_robin_scheduling 0
		.amdhsa_exception_fp_ieee_invalid_op 0
		.amdhsa_exception_fp_denorm_src 0
		.amdhsa_exception_fp_ieee_div_zero 0
		.amdhsa_exception_fp_ieee_overflow 0
		.amdhsa_exception_fp_ieee_underflow 0
		.amdhsa_exception_fp_ieee_inexact 0
		.amdhsa_exception_int_div_zero 0
	.end_amdhsa_kernel
	.section	.text._Z21device_test_warp_maskILj38EEvP10TestStatus,"axG",@progbits,_Z21device_test_warp_maskILj38EEvP10TestStatus,comdat
.Lfunc_end87:
	.size	_Z21device_test_warp_maskILj38EEvP10TestStatus, .Lfunc_end87-_Z21device_test_warp_maskILj38EEvP10TestStatus
                                        ; -- End function
	.set _Z21device_test_warp_maskILj38EEvP10TestStatus.num_vgpr, 2
	.set _Z21device_test_warp_maskILj38EEvP10TestStatus.num_agpr, 0
	.set _Z21device_test_warp_maskILj38EEvP10TestStatus.numbered_sgpr, 2
	.set _Z21device_test_warp_maskILj38EEvP10TestStatus.num_named_barrier, 0
	.set _Z21device_test_warp_maskILj38EEvP10TestStatus.private_seg_size, 0
	.set _Z21device_test_warp_maskILj38EEvP10TestStatus.uses_vcc, 0
	.set _Z21device_test_warp_maskILj38EEvP10TestStatus.uses_flat_scratch, 0
	.set _Z21device_test_warp_maskILj38EEvP10TestStatus.has_dyn_sized_stack, 0
	.set _Z21device_test_warp_maskILj38EEvP10TestStatus.has_recursion, 0
	.set _Z21device_test_warp_maskILj38EEvP10TestStatus.has_indirect_call, 0
	.section	.AMDGPU.csdata,"",@progbits
; Kernel info:
; codeLenInByte = 32
; TotalNumSgprs: 2
; NumVgprs: 2
; ScratchSize: 0
; MemoryBound: 0
; FloatMode: 240
; IeeeMode: 1
; LDSByteSize: 0 bytes/workgroup (compile time only)
; SGPRBlocks: 0
; VGPRBlocks: 0
; NumSGPRsForWavesPerEU: 2
; NumVGPRsForWavesPerEU: 2
; NamedBarCnt: 0
; Occupancy: 16
; WaveLimiterHint : 0
; COMPUTE_PGM_RSRC2:SCRATCH_EN: 0
; COMPUTE_PGM_RSRC2:USER_SGPR: 2
; COMPUTE_PGM_RSRC2:TRAP_HANDLER: 0
; COMPUTE_PGM_RSRC2:TGID_X_EN: 1
; COMPUTE_PGM_RSRC2:TGID_Y_EN: 0
; COMPUTE_PGM_RSRC2:TGID_Z_EN: 0
; COMPUTE_PGM_RSRC2:TIDIG_COMP_CNT: 0
	.section	.text._Z21device_test_warp_maskILj39EEvP10TestStatus,"axG",@progbits,_Z21device_test_warp_maskILj39EEvP10TestStatus,comdat
	.protected	_Z21device_test_warp_maskILj39EEvP10TestStatus ; -- Begin function _Z21device_test_warp_maskILj39EEvP10TestStatus
	.globl	_Z21device_test_warp_maskILj39EEvP10TestStatus
	.p2align	8
	.type	_Z21device_test_warp_maskILj39EEvP10TestStatus,@function
_Z21device_test_warp_maskILj39EEvP10TestStatus: ; @_Z21device_test_warp_maskILj39EEvP10TestStatus
; %bb.0:
	s_load_b64 s[0:1], s[0:1], 0x0
	v_mov_b32_e32 v1, 1
	s_wait_kmcnt 0x0
	global_store_b8 v0, v1, s[0:1]
	s_endpgm
	.section	.rodata,"a",@progbits
	.p2align	6, 0x0
	.amdhsa_kernel _Z21device_test_warp_maskILj39EEvP10TestStatus
		.amdhsa_group_segment_fixed_size 0
		.amdhsa_private_segment_fixed_size 0
		.amdhsa_kernarg_size 8
		.amdhsa_user_sgpr_count 2
		.amdhsa_user_sgpr_dispatch_ptr 0
		.amdhsa_user_sgpr_queue_ptr 0
		.amdhsa_user_sgpr_kernarg_segment_ptr 1
		.amdhsa_user_sgpr_dispatch_id 0
		.amdhsa_user_sgpr_kernarg_preload_length 0
		.amdhsa_user_sgpr_kernarg_preload_offset 0
		.amdhsa_user_sgpr_private_segment_size 0
		.amdhsa_wavefront_size32 1
		.amdhsa_uses_dynamic_stack 0
		.amdhsa_enable_private_segment 0
		.amdhsa_system_sgpr_workgroup_id_x 1
		.amdhsa_system_sgpr_workgroup_id_y 0
		.amdhsa_system_sgpr_workgroup_id_z 0
		.amdhsa_system_sgpr_workgroup_info 0
		.amdhsa_system_vgpr_workitem_id 0
		.amdhsa_next_free_vgpr 2
		.amdhsa_next_free_sgpr 2
		.amdhsa_named_barrier_count 0
		.amdhsa_reserve_vcc 0
		.amdhsa_float_round_mode_32 0
		.amdhsa_float_round_mode_16_64 0
		.amdhsa_float_denorm_mode_32 3
		.amdhsa_float_denorm_mode_16_64 3
		.amdhsa_fp16_overflow 0
		.amdhsa_memory_ordered 1
		.amdhsa_forward_progress 1
		.amdhsa_inst_pref_size 1
		.amdhsa_round_robin_scheduling 0
		.amdhsa_exception_fp_ieee_invalid_op 0
		.amdhsa_exception_fp_denorm_src 0
		.amdhsa_exception_fp_ieee_div_zero 0
		.amdhsa_exception_fp_ieee_overflow 0
		.amdhsa_exception_fp_ieee_underflow 0
		.amdhsa_exception_fp_ieee_inexact 0
		.amdhsa_exception_int_div_zero 0
	.end_amdhsa_kernel
	.section	.text._Z21device_test_warp_maskILj39EEvP10TestStatus,"axG",@progbits,_Z21device_test_warp_maskILj39EEvP10TestStatus,comdat
.Lfunc_end88:
	.size	_Z21device_test_warp_maskILj39EEvP10TestStatus, .Lfunc_end88-_Z21device_test_warp_maskILj39EEvP10TestStatus
                                        ; -- End function
	.set _Z21device_test_warp_maskILj39EEvP10TestStatus.num_vgpr, 2
	.set _Z21device_test_warp_maskILj39EEvP10TestStatus.num_agpr, 0
	.set _Z21device_test_warp_maskILj39EEvP10TestStatus.numbered_sgpr, 2
	.set _Z21device_test_warp_maskILj39EEvP10TestStatus.num_named_barrier, 0
	.set _Z21device_test_warp_maskILj39EEvP10TestStatus.private_seg_size, 0
	.set _Z21device_test_warp_maskILj39EEvP10TestStatus.uses_vcc, 0
	.set _Z21device_test_warp_maskILj39EEvP10TestStatus.uses_flat_scratch, 0
	.set _Z21device_test_warp_maskILj39EEvP10TestStatus.has_dyn_sized_stack, 0
	.set _Z21device_test_warp_maskILj39EEvP10TestStatus.has_recursion, 0
	.set _Z21device_test_warp_maskILj39EEvP10TestStatus.has_indirect_call, 0
	.section	.AMDGPU.csdata,"",@progbits
; Kernel info:
; codeLenInByte = 32
; TotalNumSgprs: 2
; NumVgprs: 2
; ScratchSize: 0
; MemoryBound: 0
; FloatMode: 240
; IeeeMode: 1
; LDSByteSize: 0 bytes/workgroup (compile time only)
; SGPRBlocks: 0
; VGPRBlocks: 0
; NumSGPRsForWavesPerEU: 2
; NumVGPRsForWavesPerEU: 2
; NamedBarCnt: 0
; Occupancy: 16
; WaveLimiterHint : 0
; COMPUTE_PGM_RSRC2:SCRATCH_EN: 0
; COMPUTE_PGM_RSRC2:USER_SGPR: 2
; COMPUTE_PGM_RSRC2:TRAP_HANDLER: 0
; COMPUTE_PGM_RSRC2:TGID_X_EN: 1
; COMPUTE_PGM_RSRC2:TGID_Y_EN: 0
; COMPUTE_PGM_RSRC2:TGID_Z_EN: 0
; COMPUTE_PGM_RSRC2:TIDIG_COMP_CNT: 0
	.section	.text._Z21device_test_warp_maskILj40EEvP10TestStatus,"axG",@progbits,_Z21device_test_warp_maskILj40EEvP10TestStatus,comdat
	.protected	_Z21device_test_warp_maskILj40EEvP10TestStatus ; -- Begin function _Z21device_test_warp_maskILj40EEvP10TestStatus
	.globl	_Z21device_test_warp_maskILj40EEvP10TestStatus
	.p2align	8
	.type	_Z21device_test_warp_maskILj40EEvP10TestStatus,@function
_Z21device_test_warp_maskILj40EEvP10TestStatus: ; @_Z21device_test_warp_maskILj40EEvP10TestStatus
; %bb.0:
	s_load_b64 s[0:1], s[0:1], 0x0
	v_mov_b32_e32 v1, 1
	s_wait_kmcnt 0x0
	global_store_b8 v0, v1, s[0:1]
	s_endpgm
	.section	.rodata,"a",@progbits
	.p2align	6, 0x0
	.amdhsa_kernel _Z21device_test_warp_maskILj40EEvP10TestStatus
		.amdhsa_group_segment_fixed_size 0
		.amdhsa_private_segment_fixed_size 0
		.amdhsa_kernarg_size 8
		.amdhsa_user_sgpr_count 2
		.amdhsa_user_sgpr_dispatch_ptr 0
		.amdhsa_user_sgpr_queue_ptr 0
		.amdhsa_user_sgpr_kernarg_segment_ptr 1
		.amdhsa_user_sgpr_dispatch_id 0
		.amdhsa_user_sgpr_kernarg_preload_length 0
		.amdhsa_user_sgpr_kernarg_preload_offset 0
		.amdhsa_user_sgpr_private_segment_size 0
		.amdhsa_wavefront_size32 1
		.amdhsa_uses_dynamic_stack 0
		.amdhsa_enable_private_segment 0
		.amdhsa_system_sgpr_workgroup_id_x 1
		.amdhsa_system_sgpr_workgroup_id_y 0
		.amdhsa_system_sgpr_workgroup_id_z 0
		.amdhsa_system_sgpr_workgroup_info 0
		.amdhsa_system_vgpr_workitem_id 0
		.amdhsa_next_free_vgpr 2
		.amdhsa_next_free_sgpr 2
		.amdhsa_named_barrier_count 0
		.amdhsa_reserve_vcc 0
		.amdhsa_float_round_mode_32 0
		.amdhsa_float_round_mode_16_64 0
		.amdhsa_float_denorm_mode_32 3
		.amdhsa_float_denorm_mode_16_64 3
		.amdhsa_fp16_overflow 0
		.amdhsa_memory_ordered 1
		.amdhsa_forward_progress 1
		.amdhsa_inst_pref_size 1
		.amdhsa_round_robin_scheduling 0
		.amdhsa_exception_fp_ieee_invalid_op 0
		.amdhsa_exception_fp_denorm_src 0
		.amdhsa_exception_fp_ieee_div_zero 0
		.amdhsa_exception_fp_ieee_overflow 0
		.amdhsa_exception_fp_ieee_underflow 0
		.amdhsa_exception_fp_ieee_inexact 0
		.amdhsa_exception_int_div_zero 0
	.end_amdhsa_kernel
	.section	.text._Z21device_test_warp_maskILj40EEvP10TestStatus,"axG",@progbits,_Z21device_test_warp_maskILj40EEvP10TestStatus,comdat
.Lfunc_end89:
	.size	_Z21device_test_warp_maskILj40EEvP10TestStatus, .Lfunc_end89-_Z21device_test_warp_maskILj40EEvP10TestStatus
                                        ; -- End function
	.set _Z21device_test_warp_maskILj40EEvP10TestStatus.num_vgpr, 2
	.set _Z21device_test_warp_maskILj40EEvP10TestStatus.num_agpr, 0
	.set _Z21device_test_warp_maskILj40EEvP10TestStatus.numbered_sgpr, 2
	.set _Z21device_test_warp_maskILj40EEvP10TestStatus.num_named_barrier, 0
	.set _Z21device_test_warp_maskILj40EEvP10TestStatus.private_seg_size, 0
	.set _Z21device_test_warp_maskILj40EEvP10TestStatus.uses_vcc, 0
	.set _Z21device_test_warp_maskILj40EEvP10TestStatus.uses_flat_scratch, 0
	.set _Z21device_test_warp_maskILj40EEvP10TestStatus.has_dyn_sized_stack, 0
	.set _Z21device_test_warp_maskILj40EEvP10TestStatus.has_recursion, 0
	.set _Z21device_test_warp_maskILj40EEvP10TestStatus.has_indirect_call, 0
	.section	.AMDGPU.csdata,"",@progbits
; Kernel info:
; codeLenInByte = 32
; TotalNumSgprs: 2
; NumVgprs: 2
; ScratchSize: 0
; MemoryBound: 0
; FloatMode: 240
; IeeeMode: 1
; LDSByteSize: 0 bytes/workgroup (compile time only)
; SGPRBlocks: 0
; VGPRBlocks: 0
; NumSGPRsForWavesPerEU: 2
; NumVGPRsForWavesPerEU: 2
; NamedBarCnt: 0
; Occupancy: 16
; WaveLimiterHint : 0
; COMPUTE_PGM_RSRC2:SCRATCH_EN: 0
; COMPUTE_PGM_RSRC2:USER_SGPR: 2
; COMPUTE_PGM_RSRC2:TRAP_HANDLER: 0
; COMPUTE_PGM_RSRC2:TGID_X_EN: 1
; COMPUTE_PGM_RSRC2:TGID_Y_EN: 0
; COMPUTE_PGM_RSRC2:TGID_Z_EN: 0
; COMPUTE_PGM_RSRC2:TIDIG_COMP_CNT: 0
	.section	.text._Z21device_test_warp_maskILj41EEvP10TestStatus,"axG",@progbits,_Z21device_test_warp_maskILj41EEvP10TestStatus,comdat
	.protected	_Z21device_test_warp_maskILj41EEvP10TestStatus ; -- Begin function _Z21device_test_warp_maskILj41EEvP10TestStatus
	.globl	_Z21device_test_warp_maskILj41EEvP10TestStatus
	.p2align	8
	.type	_Z21device_test_warp_maskILj41EEvP10TestStatus,@function
_Z21device_test_warp_maskILj41EEvP10TestStatus: ; @_Z21device_test_warp_maskILj41EEvP10TestStatus
; %bb.0:
	s_load_b64 s[0:1], s[0:1], 0x0
	v_mov_b32_e32 v1, 1
	s_wait_kmcnt 0x0
	global_store_b8 v0, v1, s[0:1]
	s_endpgm
	.section	.rodata,"a",@progbits
	.p2align	6, 0x0
	.amdhsa_kernel _Z21device_test_warp_maskILj41EEvP10TestStatus
		.amdhsa_group_segment_fixed_size 0
		.amdhsa_private_segment_fixed_size 0
		.amdhsa_kernarg_size 8
		.amdhsa_user_sgpr_count 2
		.amdhsa_user_sgpr_dispatch_ptr 0
		.amdhsa_user_sgpr_queue_ptr 0
		.amdhsa_user_sgpr_kernarg_segment_ptr 1
		.amdhsa_user_sgpr_dispatch_id 0
		.amdhsa_user_sgpr_kernarg_preload_length 0
		.amdhsa_user_sgpr_kernarg_preload_offset 0
		.amdhsa_user_sgpr_private_segment_size 0
		.amdhsa_wavefront_size32 1
		.amdhsa_uses_dynamic_stack 0
		.amdhsa_enable_private_segment 0
		.amdhsa_system_sgpr_workgroup_id_x 1
		.amdhsa_system_sgpr_workgroup_id_y 0
		.amdhsa_system_sgpr_workgroup_id_z 0
		.amdhsa_system_sgpr_workgroup_info 0
		.amdhsa_system_vgpr_workitem_id 0
		.amdhsa_next_free_vgpr 2
		.amdhsa_next_free_sgpr 2
		.amdhsa_named_barrier_count 0
		.amdhsa_reserve_vcc 0
		.amdhsa_float_round_mode_32 0
		.amdhsa_float_round_mode_16_64 0
		.amdhsa_float_denorm_mode_32 3
		.amdhsa_float_denorm_mode_16_64 3
		.amdhsa_fp16_overflow 0
		.amdhsa_memory_ordered 1
		.amdhsa_forward_progress 1
		.amdhsa_inst_pref_size 1
		.amdhsa_round_robin_scheduling 0
		.amdhsa_exception_fp_ieee_invalid_op 0
		.amdhsa_exception_fp_denorm_src 0
		.amdhsa_exception_fp_ieee_div_zero 0
		.amdhsa_exception_fp_ieee_overflow 0
		.amdhsa_exception_fp_ieee_underflow 0
		.amdhsa_exception_fp_ieee_inexact 0
		.amdhsa_exception_int_div_zero 0
	.end_amdhsa_kernel
	.section	.text._Z21device_test_warp_maskILj41EEvP10TestStatus,"axG",@progbits,_Z21device_test_warp_maskILj41EEvP10TestStatus,comdat
.Lfunc_end90:
	.size	_Z21device_test_warp_maskILj41EEvP10TestStatus, .Lfunc_end90-_Z21device_test_warp_maskILj41EEvP10TestStatus
                                        ; -- End function
	.set _Z21device_test_warp_maskILj41EEvP10TestStatus.num_vgpr, 2
	.set _Z21device_test_warp_maskILj41EEvP10TestStatus.num_agpr, 0
	.set _Z21device_test_warp_maskILj41EEvP10TestStatus.numbered_sgpr, 2
	.set _Z21device_test_warp_maskILj41EEvP10TestStatus.num_named_barrier, 0
	.set _Z21device_test_warp_maskILj41EEvP10TestStatus.private_seg_size, 0
	.set _Z21device_test_warp_maskILj41EEvP10TestStatus.uses_vcc, 0
	.set _Z21device_test_warp_maskILj41EEvP10TestStatus.uses_flat_scratch, 0
	.set _Z21device_test_warp_maskILj41EEvP10TestStatus.has_dyn_sized_stack, 0
	.set _Z21device_test_warp_maskILj41EEvP10TestStatus.has_recursion, 0
	.set _Z21device_test_warp_maskILj41EEvP10TestStatus.has_indirect_call, 0
	.section	.AMDGPU.csdata,"",@progbits
; Kernel info:
; codeLenInByte = 32
; TotalNumSgprs: 2
; NumVgprs: 2
; ScratchSize: 0
; MemoryBound: 0
; FloatMode: 240
; IeeeMode: 1
; LDSByteSize: 0 bytes/workgroup (compile time only)
; SGPRBlocks: 0
; VGPRBlocks: 0
; NumSGPRsForWavesPerEU: 2
; NumVGPRsForWavesPerEU: 2
; NamedBarCnt: 0
; Occupancy: 16
; WaveLimiterHint : 0
; COMPUTE_PGM_RSRC2:SCRATCH_EN: 0
; COMPUTE_PGM_RSRC2:USER_SGPR: 2
; COMPUTE_PGM_RSRC2:TRAP_HANDLER: 0
; COMPUTE_PGM_RSRC2:TGID_X_EN: 1
; COMPUTE_PGM_RSRC2:TGID_Y_EN: 0
; COMPUTE_PGM_RSRC2:TGID_Z_EN: 0
; COMPUTE_PGM_RSRC2:TIDIG_COMP_CNT: 0
	.section	.text._Z21device_test_warp_maskILj42EEvP10TestStatus,"axG",@progbits,_Z21device_test_warp_maskILj42EEvP10TestStatus,comdat
	.protected	_Z21device_test_warp_maskILj42EEvP10TestStatus ; -- Begin function _Z21device_test_warp_maskILj42EEvP10TestStatus
	.globl	_Z21device_test_warp_maskILj42EEvP10TestStatus
	.p2align	8
	.type	_Z21device_test_warp_maskILj42EEvP10TestStatus,@function
_Z21device_test_warp_maskILj42EEvP10TestStatus: ; @_Z21device_test_warp_maskILj42EEvP10TestStatus
; %bb.0:
	s_load_b64 s[0:1], s[0:1], 0x0
	v_mov_b32_e32 v1, 1
	s_wait_kmcnt 0x0
	global_store_b8 v0, v1, s[0:1]
	s_endpgm
	.section	.rodata,"a",@progbits
	.p2align	6, 0x0
	.amdhsa_kernel _Z21device_test_warp_maskILj42EEvP10TestStatus
		.amdhsa_group_segment_fixed_size 0
		.amdhsa_private_segment_fixed_size 0
		.amdhsa_kernarg_size 8
		.amdhsa_user_sgpr_count 2
		.amdhsa_user_sgpr_dispatch_ptr 0
		.amdhsa_user_sgpr_queue_ptr 0
		.amdhsa_user_sgpr_kernarg_segment_ptr 1
		.amdhsa_user_sgpr_dispatch_id 0
		.amdhsa_user_sgpr_kernarg_preload_length 0
		.amdhsa_user_sgpr_kernarg_preload_offset 0
		.amdhsa_user_sgpr_private_segment_size 0
		.amdhsa_wavefront_size32 1
		.amdhsa_uses_dynamic_stack 0
		.amdhsa_enable_private_segment 0
		.amdhsa_system_sgpr_workgroup_id_x 1
		.amdhsa_system_sgpr_workgroup_id_y 0
		.amdhsa_system_sgpr_workgroup_id_z 0
		.amdhsa_system_sgpr_workgroup_info 0
		.amdhsa_system_vgpr_workitem_id 0
		.amdhsa_next_free_vgpr 2
		.amdhsa_next_free_sgpr 2
		.amdhsa_named_barrier_count 0
		.amdhsa_reserve_vcc 0
		.amdhsa_float_round_mode_32 0
		.amdhsa_float_round_mode_16_64 0
		.amdhsa_float_denorm_mode_32 3
		.amdhsa_float_denorm_mode_16_64 3
		.amdhsa_fp16_overflow 0
		.amdhsa_memory_ordered 1
		.amdhsa_forward_progress 1
		.amdhsa_inst_pref_size 1
		.amdhsa_round_robin_scheduling 0
		.amdhsa_exception_fp_ieee_invalid_op 0
		.amdhsa_exception_fp_denorm_src 0
		.amdhsa_exception_fp_ieee_div_zero 0
		.amdhsa_exception_fp_ieee_overflow 0
		.amdhsa_exception_fp_ieee_underflow 0
		.amdhsa_exception_fp_ieee_inexact 0
		.amdhsa_exception_int_div_zero 0
	.end_amdhsa_kernel
	.section	.text._Z21device_test_warp_maskILj42EEvP10TestStatus,"axG",@progbits,_Z21device_test_warp_maskILj42EEvP10TestStatus,comdat
.Lfunc_end91:
	.size	_Z21device_test_warp_maskILj42EEvP10TestStatus, .Lfunc_end91-_Z21device_test_warp_maskILj42EEvP10TestStatus
                                        ; -- End function
	.set _Z21device_test_warp_maskILj42EEvP10TestStatus.num_vgpr, 2
	.set _Z21device_test_warp_maskILj42EEvP10TestStatus.num_agpr, 0
	.set _Z21device_test_warp_maskILj42EEvP10TestStatus.numbered_sgpr, 2
	.set _Z21device_test_warp_maskILj42EEvP10TestStatus.num_named_barrier, 0
	.set _Z21device_test_warp_maskILj42EEvP10TestStatus.private_seg_size, 0
	.set _Z21device_test_warp_maskILj42EEvP10TestStatus.uses_vcc, 0
	.set _Z21device_test_warp_maskILj42EEvP10TestStatus.uses_flat_scratch, 0
	.set _Z21device_test_warp_maskILj42EEvP10TestStatus.has_dyn_sized_stack, 0
	.set _Z21device_test_warp_maskILj42EEvP10TestStatus.has_recursion, 0
	.set _Z21device_test_warp_maskILj42EEvP10TestStatus.has_indirect_call, 0
	.section	.AMDGPU.csdata,"",@progbits
; Kernel info:
; codeLenInByte = 32
; TotalNumSgprs: 2
; NumVgprs: 2
; ScratchSize: 0
; MemoryBound: 0
; FloatMode: 240
; IeeeMode: 1
; LDSByteSize: 0 bytes/workgroup (compile time only)
; SGPRBlocks: 0
; VGPRBlocks: 0
; NumSGPRsForWavesPerEU: 2
; NumVGPRsForWavesPerEU: 2
; NamedBarCnt: 0
; Occupancy: 16
; WaveLimiterHint : 0
; COMPUTE_PGM_RSRC2:SCRATCH_EN: 0
; COMPUTE_PGM_RSRC2:USER_SGPR: 2
; COMPUTE_PGM_RSRC2:TRAP_HANDLER: 0
; COMPUTE_PGM_RSRC2:TGID_X_EN: 1
; COMPUTE_PGM_RSRC2:TGID_Y_EN: 0
; COMPUTE_PGM_RSRC2:TGID_Z_EN: 0
; COMPUTE_PGM_RSRC2:TIDIG_COMP_CNT: 0
	.section	.text._Z21device_test_warp_maskILj43EEvP10TestStatus,"axG",@progbits,_Z21device_test_warp_maskILj43EEvP10TestStatus,comdat
	.protected	_Z21device_test_warp_maskILj43EEvP10TestStatus ; -- Begin function _Z21device_test_warp_maskILj43EEvP10TestStatus
	.globl	_Z21device_test_warp_maskILj43EEvP10TestStatus
	.p2align	8
	.type	_Z21device_test_warp_maskILj43EEvP10TestStatus,@function
_Z21device_test_warp_maskILj43EEvP10TestStatus: ; @_Z21device_test_warp_maskILj43EEvP10TestStatus
; %bb.0:
	s_load_b64 s[0:1], s[0:1], 0x0
	v_mov_b32_e32 v1, 1
	s_wait_kmcnt 0x0
	global_store_b8 v0, v1, s[0:1]
	s_endpgm
	.section	.rodata,"a",@progbits
	.p2align	6, 0x0
	.amdhsa_kernel _Z21device_test_warp_maskILj43EEvP10TestStatus
		.amdhsa_group_segment_fixed_size 0
		.amdhsa_private_segment_fixed_size 0
		.amdhsa_kernarg_size 8
		.amdhsa_user_sgpr_count 2
		.amdhsa_user_sgpr_dispatch_ptr 0
		.amdhsa_user_sgpr_queue_ptr 0
		.amdhsa_user_sgpr_kernarg_segment_ptr 1
		.amdhsa_user_sgpr_dispatch_id 0
		.amdhsa_user_sgpr_kernarg_preload_length 0
		.amdhsa_user_sgpr_kernarg_preload_offset 0
		.amdhsa_user_sgpr_private_segment_size 0
		.amdhsa_wavefront_size32 1
		.amdhsa_uses_dynamic_stack 0
		.amdhsa_enable_private_segment 0
		.amdhsa_system_sgpr_workgroup_id_x 1
		.amdhsa_system_sgpr_workgroup_id_y 0
		.amdhsa_system_sgpr_workgroup_id_z 0
		.amdhsa_system_sgpr_workgroup_info 0
		.amdhsa_system_vgpr_workitem_id 0
		.amdhsa_next_free_vgpr 2
		.amdhsa_next_free_sgpr 2
		.amdhsa_named_barrier_count 0
		.amdhsa_reserve_vcc 0
		.amdhsa_float_round_mode_32 0
		.amdhsa_float_round_mode_16_64 0
		.amdhsa_float_denorm_mode_32 3
		.amdhsa_float_denorm_mode_16_64 3
		.amdhsa_fp16_overflow 0
		.amdhsa_memory_ordered 1
		.amdhsa_forward_progress 1
		.amdhsa_inst_pref_size 1
		.amdhsa_round_robin_scheduling 0
		.amdhsa_exception_fp_ieee_invalid_op 0
		.amdhsa_exception_fp_denorm_src 0
		.amdhsa_exception_fp_ieee_div_zero 0
		.amdhsa_exception_fp_ieee_overflow 0
		.amdhsa_exception_fp_ieee_underflow 0
		.amdhsa_exception_fp_ieee_inexact 0
		.amdhsa_exception_int_div_zero 0
	.end_amdhsa_kernel
	.section	.text._Z21device_test_warp_maskILj43EEvP10TestStatus,"axG",@progbits,_Z21device_test_warp_maskILj43EEvP10TestStatus,comdat
.Lfunc_end92:
	.size	_Z21device_test_warp_maskILj43EEvP10TestStatus, .Lfunc_end92-_Z21device_test_warp_maskILj43EEvP10TestStatus
                                        ; -- End function
	.set _Z21device_test_warp_maskILj43EEvP10TestStatus.num_vgpr, 2
	.set _Z21device_test_warp_maskILj43EEvP10TestStatus.num_agpr, 0
	.set _Z21device_test_warp_maskILj43EEvP10TestStatus.numbered_sgpr, 2
	.set _Z21device_test_warp_maskILj43EEvP10TestStatus.num_named_barrier, 0
	.set _Z21device_test_warp_maskILj43EEvP10TestStatus.private_seg_size, 0
	.set _Z21device_test_warp_maskILj43EEvP10TestStatus.uses_vcc, 0
	.set _Z21device_test_warp_maskILj43EEvP10TestStatus.uses_flat_scratch, 0
	.set _Z21device_test_warp_maskILj43EEvP10TestStatus.has_dyn_sized_stack, 0
	.set _Z21device_test_warp_maskILj43EEvP10TestStatus.has_recursion, 0
	.set _Z21device_test_warp_maskILj43EEvP10TestStatus.has_indirect_call, 0
	.section	.AMDGPU.csdata,"",@progbits
; Kernel info:
; codeLenInByte = 32
; TotalNumSgprs: 2
; NumVgprs: 2
; ScratchSize: 0
; MemoryBound: 0
; FloatMode: 240
; IeeeMode: 1
; LDSByteSize: 0 bytes/workgroup (compile time only)
; SGPRBlocks: 0
; VGPRBlocks: 0
; NumSGPRsForWavesPerEU: 2
; NumVGPRsForWavesPerEU: 2
; NamedBarCnt: 0
; Occupancy: 16
; WaveLimiterHint : 0
; COMPUTE_PGM_RSRC2:SCRATCH_EN: 0
; COMPUTE_PGM_RSRC2:USER_SGPR: 2
; COMPUTE_PGM_RSRC2:TRAP_HANDLER: 0
; COMPUTE_PGM_RSRC2:TGID_X_EN: 1
; COMPUTE_PGM_RSRC2:TGID_Y_EN: 0
; COMPUTE_PGM_RSRC2:TGID_Z_EN: 0
; COMPUTE_PGM_RSRC2:TIDIG_COMP_CNT: 0
	.section	.text._Z21device_test_warp_maskILj44EEvP10TestStatus,"axG",@progbits,_Z21device_test_warp_maskILj44EEvP10TestStatus,comdat
	.protected	_Z21device_test_warp_maskILj44EEvP10TestStatus ; -- Begin function _Z21device_test_warp_maskILj44EEvP10TestStatus
	.globl	_Z21device_test_warp_maskILj44EEvP10TestStatus
	.p2align	8
	.type	_Z21device_test_warp_maskILj44EEvP10TestStatus,@function
_Z21device_test_warp_maskILj44EEvP10TestStatus: ; @_Z21device_test_warp_maskILj44EEvP10TestStatus
; %bb.0:
	s_load_b64 s[0:1], s[0:1], 0x0
	v_mov_b32_e32 v1, 1
	s_wait_kmcnt 0x0
	global_store_b8 v0, v1, s[0:1]
	s_endpgm
	.section	.rodata,"a",@progbits
	.p2align	6, 0x0
	.amdhsa_kernel _Z21device_test_warp_maskILj44EEvP10TestStatus
		.amdhsa_group_segment_fixed_size 0
		.amdhsa_private_segment_fixed_size 0
		.amdhsa_kernarg_size 8
		.amdhsa_user_sgpr_count 2
		.amdhsa_user_sgpr_dispatch_ptr 0
		.amdhsa_user_sgpr_queue_ptr 0
		.amdhsa_user_sgpr_kernarg_segment_ptr 1
		.amdhsa_user_sgpr_dispatch_id 0
		.amdhsa_user_sgpr_kernarg_preload_length 0
		.amdhsa_user_sgpr_kernarg_preload_offset 0
		.amdhsa_user_sgpr_private_segment_size 0
		.amdhsa_wavefront_size32 1
		.amdhsa_uses_dynamic_stack 0
		.amdhsa_enable_private_segment 0
		.amdhsa_system_sgpr_workgroup_id_x 1
		.amdhsa_system_sgpr_workgroup_id_y 0
		.amdhsa_system_sgpr_workgroup_id_z 0
		.amdhsa_system_sgpr_workgroup_info 0
		.amdhsa_system_vgpr_workitem_id 0
		.amdhsa_next_free_vgpr 2
		.amdhsa_next_free_sgpr 2
		.amdhsa_named_barrier_count 0
		.amdhsa_reserve_vcc 0
		.amdhsa_float_round_mode_32 0
		.amdhsa_float_round_mode_16_64 0
		.amdhsa_float_denorm_mode_32 3
		.amdhsa_float_denorm_mode_16_64 3
		.amdhsa_fp16_overflow 0
		.amdhsa_memory_ordered 1
		.amdhsa_forward_progress 1
		.amdhsa_inst_pref_size 1
		.amdhsa_round_robin_scheduling 0
		.amdhsa_exception_fp_ieee_invalid_op 0
		.amdhsa_exception_fp_denorm_src 0
		.amdhsa_exception_fp_ieee_div_zero 0
		.amdhsa_exception_fp_ieee_overflow 0
		.amdhsa_exception_fp_ieee_underflow 0
		.amdhsa_exception_fp_ieee_inexact 0
		.amdhsa_exception_int_div_zero 0
	.end_amdhsa_kernel
	.section	.text._Z21device_test_warp_maskILj44EEvP10TestStatus,"axG",@progbits,_Z21device_test_warp_maskILj44EEvP10TestStatus,comdat
.Lfunc_end93:
	.size	_Z21device_test_warp_maskILj44EEvP10TestStatus, .Lfunc_end93-_Z21device_test_warp_maskILj44EEvP10TestStatus
                                        ; -- End function
	.set _Z21device_test_warp_maskILj44EEvP10TestStatus.num_vgpr, 2
	.set _Z21device_test_warp_maskILj44EEvP10TestStatus.num_agpr, 0
	.set _Z21device_test_warp_maskILj44EEvP10TestStatus.numbered_sgpr, 2
	.set _Z21device_test_warp_maskILj44EEvP10TestStatus.num_named_barrier, 0
	.set _Z21device_test_warp_maskILj44EEvP10TestStatus.private_seg_size, 0
	.set _Z21device_test_warp_maskILj44EEvP10TestStatus.uses_vcc, 0
	.set _Z21device_test_warp_maskILj44EEvP10TestStatus.uses_flat_scratch, 0
	.set _Z21device_test_warp_maskILj44EEvP10TestStatus.has_dyn_sized_stack, 0
	.set _Z21device_test_warp_maskILj44EEvP10TestStatus.has_recursion, 0
	.set _Z21device_test_warp_maskILj44EEvP10TestStatus.has_indirect_call, 0
	.section	.AMDGPU.csdata,"",@progbits
; Kernel info:
; codeLenInByte = 32
; TotalNumSgprs: 2
; NumVgprs: 2
; ScratchSize: 0
; MemoryBound: 0
; FloatMode: 240
; IeeeMode: 1
; LDSByteSize: 0 bytes/workgroup (compile time only)
; SGPRBlocks: 0
; VGPRBlocks: 0
; NumSGPRsForWavesPerEU: 2
; NumVGPRsForWavesPerEU: 2
; NamedBarCnt: 0
; Occupancy: 16
; WaveLimiterHint : 0
; COMPUTE_PGM_RSRC2:SCRATCH_EN: 0
; COMPUTE_PGM_RSRC2:USER_SGPR: 2
; COMPUTE_PGM_RSRC2:TRAP_HANDLER: 0
; COMPUTE_PGM_RSRC2:TGID_X_EN: 1
; COMPUTE_PGM_RSRC2:TGID_Y_EN: 0
; COMPUTE_PGM_RSRC2:TGID_Z_EN: 0
; COMPUTE_PGM_RSRC2:TIDIG_COMP_CNT: 0
	.section	.text._Z21device_test_warp_maskILj45EEvP10TestStatus,"axG",@progbits,_Z21device_test_warp_maskILj45EEvP10TestStatus,comdat
	.protected	_Z21device_test_warp_maskILj45EEvP10TestStatus ; -- Begin function _Z21device_test_warp_maskILj45EEvP10TestStatus
	.globl	_Z21device_test_warp_maskILj45EEvP10TestStatus
	.p2align	8
	.type	_Z21device_test_warp_maskILj45EEvP10TestStatus,@function
_Z21device_test_warp_maskILj45EEvP10TestStatus: ; @_Z21device_test_warp_maskILj45EEvP10TestStatus
; %bb.0:
	s_load_b64 s[0:1], s[0:1], 0x0
	v_mov_b32_e32 v1, 1
	s_wait_kmcnt 0x0
	global_store_b8 v0, v1, s[0:1]
	s_endpgm
	.section	.rodata,"a",@progbits
	.p2align	6, 0x0
	.amdhsa_kernel _Z21device_test_warp_maskILj45EEvP10TestStatus
		.amdhsa_group_segment_fixed_size 0
		.amdhsa_private_segment_fixed_size 0
		.amdhsa_kernarg_size 8
		.amdhsa_user_sgpr_count 2
		.amdhsa_user_sgpr_dispatch_ptr 0
		.amdhsa_user_sgpr_queue_ptr 0
		.amdhsa_user_sgpr_kernarg_segment_ptr 1
		.amdhsa_user_sgpr_dispatch_id 0
		.amdhsa_user_sgpr_kernarg_preload_length 0
		.amdhsa_user_sgpr_kernarg_preload_offset 0
		.amdhsa_user_sgpr_private_segment_size 0
		.amdhsa_wavefront_size32 1
		.amdhsa_uses_dynamic_stack 0
		.amdhsa_enable_private_segment 0
		.amdhsa_system_sgpr_workgroup_id_x 1
		.amdhsa_system_sgpr_workgroup_id_y 0
		.amdhsa_system_sgpr_workgroup_id_z 0
		.amdhsa_system_sgpr_workgroup_info 0
		.amdhsa_system_vgpr_workitem_id 0
		.amdhsa_next_free_vgpr 2
		.amdhsa_next_free_sgpr 2
		.amdhsa_named_barrier_count 0
		.amdhsa_reserve_vcc 0
		.amdhsa_float_round_mode_32 0
		.amdhsa_float_round_mode_16_64 0
		.amdhsa_float_denorm_mode_32 3
		.amdhsa_float_denorm_mode_16_64 3
		.amdhsa_fp16_overflow 0
		.amdhsa_memory_ordered 1
		.amdhsa_forward_progress 1
		.amdhsa_inst_pref_size 1
		.amdhsa_round_robin_scheduling 0
		.amdhsa_exception_fp_ieee_invalid_op 0
		.amdhsa_exception_fp_denorm_src 0
		.amdhsa_exception_fp_ieee_div_zero 0
		.amdhsa_exception_fp_ieee_overflow 0
		.amdhsa_exception_fp_ieee_underflow 0
		.amdhsa_exception_fp_ieee_inexact 0
		.amdhsa_exception_int_div_zero 0
	.end_amdhsa_kernel
	.section	.text._Z21device_test_warp_maskILj45EEvP10TestStatus,"axG",@progbits,_Z21device_test_warp_maskILj45EEvP10TestStatus,comdat
.Lfunc_end94:
	.size	_Z21device_test_warp_maskILj45EEvP10TestStatus, .Lfunc_end94-_Z21device_test_warp_maskILj45EEvP10TestStatus
                                        ; -- End function
	.set _Z21device_test_warp_maskILj45EEvP10TestStatus.num_vgpr, 2
	.set _Z21device_test_warp_maskILj45EEvP10TestStatus.num_agpr, 0
	.set _Z21device_test_warp_maskILj45EEvP10TestStatus.numbered_sgpr, 2
	.set _Z21device_test_warp_maskILj45EEvP10TestStatus.num_named_barrier, 0
	.set _Z21device_test_warp_maskILj45EEvP10TestStatus.private_seg_size, 0
	.set _Z21device_test_warp_maskILj45EEvP10TestStatus.uses_vcc, 0
	.set _Z21device_test_warp_maskILj45EEvP10TestStatus.uses_flat_scratch, 0
	.set _Z21device_test_warp_maskILj45EEvP10TestStatus.has_dyn_sized_stack, 0
	.set _Z21device_test_warp_maskILj45EEvP10TestStatus.has_recursion, 0
	.set _Z21device_test_warp_maskILj45EEvP10TestStatus.has_indirect_call, 0
	.section	.AMDGPU.csdata,"",@progbits
; Kernel info:
; codeLenInByte = 32
; TotalNumSgprs: 2
; NumVgprs: 2
; ScratchSize: 0
; MemoryBound: 0
; FloatMode: 240
; IeeeMode: 1
; LDSByteSize: 0 bytes/workgroup (compile time only)
; SGPRBlocks: 0
; VGPRBlocks: 0
; NumSGPRsForWavesPerEU: 2
; NumVGPRsForWavesPerEU: 2
; NamedBarCnt: 0
; Occupancy: 16
; WaveLimiterHint : 0
; COMPUTE_PGM_RSRC2:SCRATCH_EN: 0
; COMPUTE_PGM_RSRC2:USER_SGPR: 2
; COMPUTE_PGM_RSRC2:TRAP_HANDLER: 0
; COMPUTE_PGM_RSRC2:TGID_X_EN: 1
; COMPUTE_PGM_RSRC2:TGID_Y_EN: 0
; COMPUTE_PGM_RSRC2:TGID_Z_EN: 0
; COMPUTE_PGM_RSRC2:TIDIG_COMP_CNT: 0
	.section	.text._Z21device_test_warp_maskILj46EEvP10TestStatus,"axG",@progbits,_Z21device_test_warp_maskILj46EEvP10TestStatus,comdat
	.protected	_Z21device_test_warp_maskILj46EEvP10TestStatus ; -- Begin function _Z21device_test_warp_maskILj46EEvP10TestStatus
	.globl	_Z21device_test_warp_maskILj46EEvP10TestStatus
	.p2align	8
	.type	_Z21device_test_warp_maskILj46EEvP10TestStatus,@function
_Z21device_test_warp_maskILj46EEvP10TestStatus: ; @_Z21device_test_warp_maskILj46EEvP10TestStatus
; %bb.0:
	s_load_b64 s[0:1], s[0:1], 0x0
	v_mov_b32_e32 v1, 1
	s_wait_kmcnt 0x0
	global_store_b8 v0, v1, s[0:1]
	s_endpgm
	.section	.rodata,"a",@progbits
	.p2align	6, 0x0
	.amdhsa_kernel _Z21device_test_warp_maskILj46EEvP10TestStatus
		.amdhsa_group_segment_fixed_size 0
		.amdhsa_private_segment_fixed_size 0
		.amdhsa_kernarg_size 8
		.amdhsa_user_sgpr_count 2
		.amdhsa_user_sgpr_dispatch_ptr 0
		.amdhsa_user_sgpr_queue_ptr 0
		.amdhsa_user_sgpr_kernarg_segment_ptr 1
		.amdhsa_user_sgpr_dispatch_id 0
		.amdhsa_user_sgpr_kernarg_preload_length 0
		.amdhsa_user_sgpr_kernarg_preload_offset 0
		.amdhsa_user_sgpr_private_segment_size 0
		.amdhsa_wavefront_size32 1
		.amdhsa_uses_dynamic_stack 0
		.amdhsa_enable_private_segment 0
		.amdhsa_system_sgpr_workgroup_id_x 1
		.amdhsa_system_sgpr_workgroup_id_y 0
		.amdhsa_system_sgpr_workgroup_id_z 0
		.amdhsa_system_sgpr_workgroup_info 0
		.amdhsa_system_vgpr_workitem_id 0
		.amdhsa_next_free_vgpr 2
		.amdhsa_next_free_sgpr 2
		.amdhsa_named_barrier_count 0
		.amdhsa_reserve_vcc 0
		.amdhsa_float_round_mode_32 0
		.amdhsa_float_round_mode_16_64 0
		.amdhsa_float_denorm_mode_32 3
		.amdhsa_float_denorm_mode_16_64 3
		.amdhsa_fp16_overflow 0
		.amdhsa_memory_ordered 1
		.amdhsa_forward_progress 1
		.amdhsa_inst_pref_size 1
		.amdhsa_round_robin_scheduling 0
		.amdhsa_exception_fp_ieee_invalid_op 0
		.amdhsa_exception_fp_denorm_src 0
		.amdhsa_exception_fp_ieee_div_zero 0
		.amdhsa_exception_fp_ieee_overflow 0
		.amdhsa_exception_fp_ieee_underflow 0
		.amdhsa_exception_fp_ieee_inexact 0
		.amdhsa_exception_int_div_zero 0
	.end_amdhsa_kernel
	.section	.text._Z21device_test_warp_maskILj46EEvP10TestStatus,"axG",@progbits,_Z21device_test_warp_maskILj46EEvP10TestStatus,comdat
.Lfunc_end95:
	.size	_Z21device_test_warp_maskILj46EEvP10TestStatus, .Lfunc_end95-_Z21device_test_warp_maskILj46EEvP10TestStatus
                                        ; -- End function
	.set _Z21device_test_warp_maskILj46EEvP10TestStatus.num_vgpr, 2
	.set _Z21device_test_warp_maskILj46EEvP10TestStatus.num_agpr, 0
	.set _Z21device_test_warp_maskILj46EEvP10TestStatus.numbered_sgpr, 2
	.set _Z21device_test_warp_maskILj46EEvP10TestStatus.num_named_barrier, 0
	.set _Z21device_test_warp_maskILj46EEvP10TestStatus.private_seg_size, 0
	.set _Z21device_test_warp_maskILj46EEvP10TestStatus.uses_vcc, 0
	.set _Z21device_test_warp_maskILj46EEvP10TestStatus.uses_flat_scratch, 0
	.set _Z21device_test_warp_maskILj46EEvP10TestStatus.has_dyn_sized_stack, 0
	.set _Z21device_test_warp_maskILj46EEvP10TestStatus.has_recursion, 0
	.set _Z21device_test_warp_maskILj46EEvP10TestStatus.has_indirect_call, 0
	.section	.AMDGPU.csdata,"",@progbits
; Kernel info:
; codeLenInByte = 32
; TotalNumSgprs: 2
; NumVgprs: 2
; ScratchSize: 0
; MemoryBound: 0
; FloatMode: 240
; IeeeMode: 1
; LDSByteSize: 0 bytes/workgroup (compile time only)
; SGPRBlocks: 0
; VGPRBlocks: 0
; NumSGPRsForWavesPerEU: 2
; NumVGPRsForWavesPerEU: 2
; NamedBarCnt: 0
; Occupancy: 16
; WaveLimiterHint : 0
; COMPUTE_PGM_RSRC2:SCRATCH_EN: 0
; COMPUTE_PGM_RSRC2:USER_SGPR: 2
; COMPUTE_PGM_RSRC2:TRAP_HANDLER: 0
; COMPUTE_PGM_RSRC2:TGID_X_EN: 1
; COMPUTE_PGM_RSRC2:TGID_Y_EN: 0
; COMPUTE_PGM_RSRC2:TGID_Z_EN: 0
; COMPUTE_PGM_RSRC2:TIDIG_COMP_CNT: 0
	.section	.text._Z21device_test_warp_maskILj47EEvP10TestStatus,"axG",@progbits,_Z21device_test_warp_maskILj47EEvP10TestStatus,comdat
	.protected	_Z21device_test_warp_maskILj47EEvP10TestStatus ; -- Begin function _Z21device_test_warp_maskILj47EEvP10TestStatus
	.globl	_Z21device_test_warp_maskILj47EEvP10TestStatus
	.p2align	8
	.type	_Z21device_test_warp_maskILj47EEvP10TestStatus,@function
_Z21device_test_warp_maskILj47EEvP10TestStatus: ; @_Z21device_test_warp_maskILj47EEvP10TestStatus
; %bb.0:
	s_load_b64 s[0:1], s[0:1], 0x0
	v_mov_b32_e32 v1, 1
	s_wait_kmcnt 0x0
	global_store_b8 v0, v1, s[0:1]
	s_endpgm
	.section	.rodata,"a",@progbits
	.p2align	6, 0x0
	.amdhsa_kernel _Z21device_test_warp_maskILj47EEvP10TestStatus
		.amdhsa_group_segment_fixed_size 0
		.amdhsa_private_segment_fixed_size 0
		.amdhsa_kernarg_size 8
		.amdhsa_user_sgpr_count 2
		.amdhsa_user_sgpr_dispatch_ptr 0
		.amdhsa_user_sgpr_queue_ptr 0
		.amdhsa_user_sgpr_kernarg_segment_ptr 1
		.amdhsa_user_sgpr_dispatch_id 0
		.amdhsa_user_sgpr_kernarg_preload_length 0
		.amdhsa_user_sgpr_kernarg_preload_offset 0
		.amdhsa_user_sgpr_private_segment_size 0
		.amdhsa_wavefront_size32 1
		.amdhsa_uses_dynamic_stack 0
		.amdhsa_enable_private_segment 0
		.amdhsa_system_sgpr_workgroup_id_x 1
		.amdhsa_system_sgpr_workgroup_id_y 0
		.amdhsa_system_sgpr_workgroup_id_z 0
		.amdhsa_system_sgpr_workgroup_info 0
		.amdhsa_system_vgpr_workitem_id 0
		.amdhsa_next_free_vgpr 2
		.amdhsa_next_free_sgpr 2
		.amdhsa_named_barrier_count 0
		.amdhsa_reserve_vcc 0
		.amdhsa_float_round_mode_32 0
		.amdhsa_float_round_mode_16_64 0
		.amdhsa_float_denorm_mode_32 3
		.amdhsa_float_denorm_mode_16_64 3
		.amdhsa_fp16_overflow 0
		.amdhsa_memory_ordered 1
		.amdhsa_forward_progress 1
		.amdhsa_inst_pref_size 1
		.amdhsa_round_robin_scheduling 0
		.amdhsa_exception_fp_ieee_invalid_op 0
		.amdhsa_exception_fp_denorm_src 0
		.amdhsa_exception_fp_ieee_div_zero 0
		.amdhsa_exception_fp_ieee_overflow 0
		.amdhsa_exception_fp_ieee_underflow 0
		.amdhsa_exception_fp_ieee_inexact 0
		.amdhsa_exception_int_div_zero 0
	.end_amdhsa_kernel
	.section	.text._Z21device_test_warp_maskILj47EEvP10TestStatus,"axG",@progbits,_Z21device_test_warp_maskILj47EEvP10TestStatus,comdat
.Lfunc_end96:
	.size	_Z21device_test_warp_maskILj47EEvP10TestStatus, .Lfunc_end96-_Z21device_test_warp_maskILj47EEvP10TestStatus
                                        ; -- End function
	.set _Z21device_test_warp_maskILj47EEvP10TestStatus.num_vgpr, 2
	.set _Z21device_test_warp_maskILj47EEvP10TestStatus.num_agpr, 0
	.set _Z21device_test_warp_maskILj47EEvP10TestStatus.numbered_sgpr, 2
	.set _Z21device_test_warp_maskILj47EEvP10TestStatus.num_named_barrier, 0
	.set _Z21device_test_warp_maskILj47EEvP10TestStatus.private_seg_size, 0
	.set _Z21device_test_warp_maskILj47EEvP10TestStatus.uses_vcc, 0
	.set _Z21device_test_warp_maskILj47EEvP10TestStatus.uses_flat_scratch, 0
	.set _Z21device_test_warp_maskILj47EEvP10TestStatus.has_dyn_sized_stack, 0
	.set _Z21device_test_warp_maskILj47EEvP10TestStatus.has_recursion, 0
	.set _Z21device_test_warp_maskILj47EEvP10TestStatus.has_indirect_call, 0
	.section	.AMDGPU.csdata,"",@progbits
; Kernel info:
; codeLenInByte = 32
; TotalNumSgprs: 2
; NumVgprs: 2
; ScratchSize: 0
; MemoryBound: 0
; FloatMode: 240
; IeeeMode: 1
; LDSByteSize: 0 bytes/workgroup (compile time only)
; SGPRBlocks: 0
; VGPRBlocks: 0
; NumSGPRsForWavesPerEU: 2
; NumVGPRsForWavesPerEU: 2
; NamedBarCnt: 0
; Occupancy: 16
; WaveLimiterHint : 0
; COMPUTE_PGM_RSRC2:SCRATCH_EN: 0
; COMPUTE_PGM_RSRC2:USER_SGPR: 2
; COMPUTE_PGM_RSRC2:TRAP_HANDLER: 0
; COMPUTE_PGM_RSRC2:TGID_X_EN: 1
; COMPUTE_PGM_RSRC2:TGID_Y_EN: 0
; COMPUTE_PGM_RSRC2:TGID_Z_EN: 0
; COMPUTE_PGM_RSRC2:TIDIG_COMP_CNT: 0
	.section	.text._Z21device_test_warp_maskILj48EEvP10TestStatus,"axG",@progbits,_Z21device_test_warp_maskILj48EEvP10TestStatus,comdat
	.protected	_Z21device_test_warp_maskILj48EEvP10TestStatus ; -- Begin function _Z21device_test_warp_maskILj48EEvP10TestStatus
	.globl	_Z21device_test_warp_maskILj48EEvP10TestStatus
	.p2align	8
	.type	_Z21device_test_warp_maskILj48EEvP10TestStatus,@function
_Z21device_test_warp_maskILj48EEvP10TestStatus: ; @_Z21device_test_warp_maskILj48EEvP10TestStatus
; %bb.0:
	s_load_b64 s[0:1], s[0:1], 0x0
	v_mov_b32_e32 v1, 1
	s_wait_kmcnt 0x0
	global_store_b8 v0, v1, s[0:1]
	s_endpgm
	.section	.rodata,"a",@progbits
	.p2align	6, 0x0
	.amdhsa_kernel _Z21device_test_warp_maskILj48EEvP10TestStatus
		.amdhsa_group_segment_fixed_size 0
		.amdhsa_private_segment_fixed_size 0
		.amdhsa_kernarg_size 8
		.amdhsa_user_sgpr_count 2
		.amdhsa_user_sgpr_dispatch_ptr 0
		.amdhsa_user_sgpr_queue_ptr 0
		.amdhsa_user_sgpr_kernarg_segment_ptr 1
		.amdhsa_user_sgpr_dispatch_id 0
		.amdhsa_user_sgpr_kernarg_preload_length 0
		.amdhsa_user_sgpr_kernarg_preload_offset 0
		.amdhsa_user_sgpr_private_segment_size 0
		.amdhsa_wavefront_size32 1
		.amdhsa_uses_dynamic_stack 0
		.amdhsa_enable_private_segment 0
		.amdhsa_system_sgpr_workgroup_id_x 1
		.amdhsa_system_sgpr_workgroup_id_y 0
		.amdhsa_system_sgpr_workgroup_id_z 0
		.amdhsa_system_sgpr_workgroup_info 0
		.amdhsa_system_vgpr_workitem_id 0
		.amdhsa_next_free_vgpr 2
		.amdhsa_next_free_sgpr 2
		.amdhsa_named_barrier_count 0
		.amdhsa_reserve_vcc 0
		.amdhsa_float_round_mode_32 0
		.amdhsa_float_round_mode_16_64 0
		.amdhsa_float_denorm_mode_32 3
		.amdhsa_float_denorm_mode_16_64 3
		.amdhsa_fp16_overflow 0
		.amdhsa_memory_ordered 1
		.amdhsa_forward_progress 1
		.amdhsa_inst_pref_size 1
		.amdhsa_round_robin_scheduling 0
		.amdhsa_exception_fp_ieee_invalid_op 0
		.amdhsa_exception_fp_denorm_src 0
		.amdhsa_exception_fp_ieee_div_zero 0
		.amdhsa_exception_fp_ieee_overflow 0
		.amdhsa_exception_fp_ieee_underflow 0
		.amdhsa_exception_fp_ieee_inexact 0
		.amdhsa_exception_int_div_zero 0
	.end_amdhsa_kernel
	.section	.text._Z21device_test_warp_maskILj48EEvP10TestStatus,"axG",@progbits,_Z21device_test_warp_maskILj48EEvP10TestStatus,comdat
.Lfunc_end97:
	.size	_Z21device_test_warp_maskILj48EEvP10TestStatus, .Lfunc_end97-_Z21device_test_warp_maskILj48EEvP10TestStatus
                                        ; -- End function
	.set _Z21device_test_warp_maskILj48EEvP10TestStatus.num_vgpr, 2
	.set _Z21device_test_warp_maskILj48EEvP10TestStatus.num_agpr, 0
	.set _Z21device_test_warp_maskILj48EEvP10TestStatus.numbered_sgpr, 2
	.set _Z21device_test_warp_maskILj48EEvP10TestStatus.num_named_barrier, 0
	.set _Z21device_test_warp_maskILj48EEvP10TestStatus.private_seg_size, 0
	.set _Z21device_test_warp_maskILj48EEvP10TestStatus.uses_vcc, 0
	.set _Z21device_test_warp_maskILj48EEvP10TestStatus.uses_flat_scratch, 0
	.set _Z21device_test_warp_maskILj48EEvP10TestStatus.has_dyn_sized_stack, 0
	.set _Z21device_test_warp_maskILj48EEvP10TestStatus.has_recursion, 0
	.set _Z21device_test_warp_maskILj48EEvP10TestStatus.has_indirect_call, 0
	.section	.AMDGPU.csdata,"",@progbits
; Kernel info:
; codeLenInByte = 32
; TotalNumSgprs: 2
; NumVgprs: 2
; ScratchSize: 0
; MemoryBound: 0
; FloatMode: 240
; IeeeMode: 1
; LDSByteSize: 0 bytes/workgroup (compile time only)
; SGPRBlocks: 0
; VGPRBlocks: 0
; NumSGPRsForWavesPerEU: 2
; NumVGPRsForWavesPerEU: 2
; NamedBarCnt: 0
; Occupancy: 16
; WaveLimiterHint : 0
; COMPUTE_PGM_RSRC2:SCRATCH_EN: 0
; COMPUTE_PGM_RSRC2:USER_SGPR: 2
; COMPUTE_PGM_RSRC2:TRAP_HANDLER: 0
; COMPUTE_PGM_RSRC2:TGID_X_EN: 1
; COMPUTE_PGM_RSRC2:TGID_Y_EN: 0
; COMPUTE_PGM_RSRC2:TGID_Z_EN: 0
; COMPUTE_PGM_RSRC2:TIDIG_COMP_CNT: 0
	.section	.text._Z21device_test_warp_maskILj49EEvP10TestStatus,"axG",@progbits,_Z21device_test_warp_maskILj49EEvP10TestStatus,comdat
	.protected	_Z21device_test_warp_maskILj49EEvP10TestStatus ; -- Begin function _Z21device_test_warp_maskILj49EEvP10TestStatus
	.globl	_Z21device_test_warp_maskILj49EEvP10TestStatus
	.p2align	8
	.type	_Z21device_test_warp_maskILj49EEvP10TestStatus,@function
_Z21device_test_warp_maskILj49EEvP10TestStatus: ; @_Z21device_test_warp_maskILj49EEvP10TestStatus
; %bb.0:
	s_load_b64 s[0:1], s[0:1], 0x0
	v_mov_b32_e32 v1, 1
	s_wait_kmcnt 0x0
	global_store_b8 v0, v1, s[0:1]
	s_endpgm
	.section	.rodata,"a",@progbits
	.p2align	6, 0x0
	.amdhsa_kernel _Z21device_test_warp_maskILj49EEvP10TestStatus
		.amdhsa_group_segment_fixed_size 0
		.amdhsa_private_segment_fixed_size 0
		.amdhsa_kernarg_size 8
		.amdhsa_user_sgpr_count 2
		.amdhsa_user_sgpr_dispatch_ptr 0
		.amdhsa_user_sgpr_queue_ptr 0
		.amdhsa_user_sgpr_kernarg_segment_ptr 1
		.amdhsa_user_sgpr_dispatch_id 0
		.amdhsa_user_sgpr_kernarg_preload_length 0
		.amdhsa_user_sgpr_kernarg_preload_offset 0
		.amdhsa_user_sgpr_private_segment_size 0
		.amdhsa_wavefront_size32 1
		.amdhsa_uses_dynamic_stack 0
		.amdhsa_enable_private_segment 0
		.amdhsa_system_sgpr_workgroup_id_x 1
		.amdhsa_system_sgpr_workgroup_id_y 0
		.amdhsa_system_sgpr_workgroup_id_z 0
		.amdhsa_system_sgpr_workgroup_info 0
		.amdhsa_system_vgpr_workitem_id 0
		.amdhsa_next_free_vgpr 2
		.amdhsa_next_free_sgpr 2
		.amdhsa_named_barrier_count 0
		.amdhsa_reserve_vcc 0
		.amdhsa_float_round_mode_32 0
		.amdhsa_float_round_mode_16_64 0
		.amdhsa_float_denorm_mode_32 3
		.amdhsa_float_denorm_mode_16_64 3
		.amdhsa_fp16_overflow 0
		.amdhsa_memory_ordered 1
		.amdhsa_forward_progress 1
		.amdhsa_inst_pref_size 1
		.amdhsa_round_robin_scheduling 0
		.amdhsa_exception_fp_ieee_invalid_op 0
		.amdhsa_exception_fp_denorm_src 0
		.amdhsa_exception_fp_ieee_div_zero 0
		.amdhsa_exception_fp_ieee_overflow 0
		.amdhsa_exception_fp_ieee_underflow 0
		.amdhsa_exception_fp_ieee_inexact 0
		.amdhsa_exception_int_div_zero 0
	.end_amdhsa_kernel
	.section	.text._Z21device_test_warp_maskILj49EEvP10TestStatus,"axG",@progbits,_Z21device_test_warp_maskILj49EEvP10TestStatus,comdat
.Lfunc_end98:
	.size	_Z21device_test_warp_maskILj49EEvP10TestStatus, .Lfunc_end98-_Z21device_test_warp_maskILj49EEvP10TestStatus
                                        ; -- End function
	.set _Z21device_test_warp_maskILj49EEvP10TestStatus.num_vgpr, 2
	.set _Z21device_test_warp_maskILj49EEvP10TestStatus.num_agpr, 0
	.set _Z21device_test_warp_maskILj49EEvP10TestStatus.numbered_sgpr, 2
	.set _Z21device_test_warp_maskILj49EEvP10TestStatus.num_named_barrier, 0
	.set _Z21device_test_warp_maskILj49EEvP10TestStatus.private_seg_size, 0
	.set _Z21device_test_warp_maskILj49EEvP10TestStatus.uses_vcc, 0
	.set _Z21device_test_warp_maskILj49EEvP10TestStatus.uses_flat_scratch, 0
	.set _Z21device_test_warp_maskILj49EEvP10TestStatus.has_dyn_sized_stack, 0
	.set _Z21device_test_warp_maskILj49EEvP10TestStatus.has_recursion, 0
	.set _Z21device_test_warp_maskILj49EEvP10TestStatus.has_indirect_call, 0
	.section	.AMDGPU.csdata,"",@progbits
; Kernel info:
; codeLenInByte = 32
; TotalNumSgprs: 2
; NumVgprs: 2
; ScratchSize: 0
; MemoryBound: 0
; FloatMode: 240
; IeeeMode: 1
; LDSByteSize: 0 bytes/workgroup (compile time only)
; SGPRBlocks: 0
; VGPRBlocks: 0
; NumSGPRsForWavesPerEU: 2
; NumVGPRsForWavesPerEU: 2
; NamedBarCnt: 0
; Occupancy: 16
; WaveLimiterHint : 0
; COMPUTE_PGM_RSRC2:SCRATCH_EN: 0
; COMPUTE_PGM_RSRC2:USER_SGPR: 2
; COMPUTE_PGM_RSRC2:TRAP_HANDLER: 0
; COMPUTE_PGM_RSRC2:TGID_X_EN: 1
; COMPUTE_PGM_RSRC2:TGID_Y_EN: 0
; COMPUTE_PGM_RSRC2:TGID_Z_EN: 0
; COMPUTE_PGM_RSRC2:TIDIG_COMP_CNT: 0
	.section	.text._Z21device_test_warp_maskILj50EEvP10TestStatus,"axG",@progbits,_Z21device_test_warp_maskILj50EEvP10TestStatus,comdat
	.protected	_Z21device_test_warp_maskILj50EEvP10TestStatus ; -- Begin function _Z21device_test_warp_maskILj50EEvP10TestStatus
	.globl	_Z21device_test_warp_maskILj50EEvP10TestStatus
	.p2align	8
	.type	_Z21device_test_warp_maskILj50EEvP10TestStatus,@function
_Z21device_test_warp_maskILj50EEvP10TestStatus: ; @_Z21device_test_warp_maskILj50EEvP10TestStatus
; %bb.0:
	s_load_b64 s[0:1], s[0:1], 0x0
	v_mov_b32_e32 v1, 1
	s_wait_kmcnt 0x0
	global_store_b8 v0, v1, s[0:1]
	s_endpgm
	.section	.rodata,"a",@progbits
	.p2align	6, 0x0
	.amdhsa_kernel _Z21device_test_warp_maskILj50EEvP10TestStatus
		.amdhsa_group_segment_fixed_size 0
		.amdhsa_private_segment_fixed_size 0
		.amdhsa_kernarg_size 8
		.amdhsa_user_sgpr_count 2
		.amdhsa_user_sgpr_dispatch_ptr 0
		.amdhsa_user_sgpr_queue_ptr 0
		.amdhsa_user_sgpr_kernarg_segment_ptr 1
		.amdhsa_user_sgpr_dispatch_id 0
		.amdhsa_user_sgpr_kernarg_preload_length 0
		.amdhsa_user_sgpr_kernarg_preload_offset 0
		.amdhsa_user_sgpr_private_segment_size 0
		.amdhsa_wavefront_size32 1
		.amdhsa_uses_dynamic_stack 0
		.amdhsa_enable_private_segment 0
		.amdhsa_system_sgpr_workgroup_id_x 1
		.amdhsa_system_sgpr_workgroup_id_y 0
		.amdhsa_system_sgpr_workgroup_id_z 0
		.amdhsa_system_sgpr_workgroup_info 0
		.amdhsa_system_vgpr_workitem_id 0
		.amdhsa_next_free_vgpr 2
		.amdhsa_next_free_sgpr 2
		.amdhsa_named_barrier_count 0
		.amdhsa_reserve_vcc 0
		.amdhsa_float_round_mode_32 0
		.amdhsa_float_round_mode_16_64 0
		.amdhsa_float_denorm_mode_32 3
		.amdhsa_float_denorm_mode_16_64 3
		.amdhsa_fp16_overflow 0
		.amdhsa_memory_ordered 1
		.amdhsa_forward_progress 1
		.amdhsa_inst_pref_size 1
		.amdhsa_round_robin_scheduling 0
		.amdhsa_exception_fp_ieee_invalid_op 0
		.amdhsa_exception_fp_denorm_src 0
		.amdhsa_exception_fp_ieee_div_zero 0
		.amdhsa_exception_fp_ieee_overflow 0
		.amdhsa_exception_fp_ieee_underflow 0
		.amdhsa_exception_fp_ieee_inexact 0
		.amdhsa_exception_int_div_zero 0
	.end_amdhsa_kernel
	.section	.text._Z21device_test_warp_maskILj50EEvP10TestStatus,"axG",@progbits,_Z21device_test_warp_maskILj50EEvP10TestStatus,comdat
.Lfunc_end99:
	.size	_Z21device_test_warp_maskILj50EEvP10TestStatus, .Lfunc_end99-_Z21device_test_warp_maskILj50EEvP10TestStatus
                                        ; -- End function
	.set _Z21device_test_warp_maskILj50EEvP10TestStatus.num_vgpr, 2
	.set _Z21device_test_warp_maskILj50EEvP10TestStatus.num_agpr, 0
	.set _Z21device_test_warp_maskILj50EEvP10TestStatus.numbered_sgpr, 2
	.set _Z21device_test_warp_maskILj50EEvP10TestStatus.num_named_barrier, 0
	.set _Z21device_test_warp_maskILj50EEvP10TestStatus.private_seg_size, 0
	.set _Z21device_test_warp_maskILj50EEvP10TestStatus.uses_vcc, 0
	.set _Z21device_test_warp_maskILj50EEvP10TestStatus.uses_flat_scratch, 0
	.set _Z21device_test_warp_maskILj50EEvP10TestStatus.has_dyn_sized_stack, 0
	.set _Z21device_test_warp_maskILj50EEvP10TestStatus.has_recursion, 0
	.set _Z21device_test_warp_maskILj50EEvP10TestStatus.has_indirect_call, 0
	.section	.AMDGPU.csdata,"",@progbits
; Kernel info:
; codeLenInByte = 32
; TotalNumSgprs: 2
; NumVgprs: 2
; ScratchSize: 0
; MemoryBound: 0
; FloatMode: 240
; IeeeMode: 1
; LDSByteSize: 0 bytes/workgroup (compile time only)
; SGPRBlocks: 0
; VGPRBlocks: 0
; NumSGPRsForWavesPerEU: 2
; NumVGPRsForWavesPerEU: 2
; NamedBarCnt: 0
; Occupancy: 16
; WaveLimiterHint : 0
; COMPUTE_PGM_RSRC2:SCRATCH_EN: 0
; COMPUTE_PGM_RSRC2:USER_SGPR: 2
; COMPUTE_PGM_RSRC2:TRAP_HANDLER: 0
; COMPUTE_PGM_RSRC2:TGID_X_EN: 1
; COMPUTE_PGM_RSRC2:TGID_Y_EN: 0
; COMPUTE_PGM_RSRC2:TGID_Z_EN: 0
; COMPUTE_PGM_RSRC2:TIDIG_COMP_CNT: 0
	.section	.text._Z21device_test_warp_maskILj51EEvP10TestStatus,"axG",@progbits,_Z21device_test_warp_maskILj51EEvP10TestStatus,comdat
	.protected	_Z21device_test_warp_maskILj51EEvP10TestStatus ; -- Begin function _Z21device_test_warp_maskILj51EEvP10TestStatus
	.globl	_Z21device_test_warp_maskILj51EEvP10TestStatus
	.p2align	8
	.type	_Z21device_test_warp_maskILj51EEvP10TestStatus,@function
_Z21device_test_warp_maskILj51EEvP10TestStatus: ; @_Z21device_test_warp_maskILj51EEvP10TestStatus
; %bb.0:
	s_load_b64 s[0:1], s[0:1], 0x0
	v_mov_b32_e32 v1, 1
	s_wait_kmcnt 0x0
	global_store_b8 v0, v1, s[0:1]
	s_endpgm
	.section	.rodata,"a",@progbits
	.p2align	6, 0x0
	.amdhsa_kernel _Z21device_test_warp_maskILj51EEvP10TestStatus
		.amdhsa_group_segment_fixed_size 0
		.amdhsa_private_segment_fixed_size 0
		.amdhsa_kernarg_size 8
		.amdhsa_user_sgpr_count 2
		.amdhsa_user_sgpr_dispatch_ptr 0
		.amdhsa_user_sgpr_queue_ptr 0
		.amdhsa_user_sgpr_kernarg_segment_ptr 1
		.amdhsa_user_sgpr_dispatch_id 0
		.amdhsa_user_sgpr_kernarg_preload_length 0
		.amdhsa_user_sgpr_kernarg_preload_offset 0
		.amdhsa_user_sgpr_private_segment_size 0
		.amdhsa_wavefront_size32 1
		.amdhsa_uses_dynamic_stack 0
		.amdhsa_enable_private_segment 0
		.amdhsa_system_sgpr_workgroup_id_x 1
		.amdhsa_system_sgpr_workgroup_id_y 0
		.amdhsa_system_sgpr_workgroup_id_z 0
		.amdhsa_system_sgpr_workgroup_info 0
		.amdhsa_system_vgpr_workitem_id 0
		.amdhsa_next_free_vgpr 2
		.amdhsa_next_free_sgpr 2
		.amdhsa_named_barrier_count 0
		.amdhsa_reserve_vcc 0
		.amdhsa_float_round_mode_32 0
		.amdhsa_float_round_mode_16_64 0
		.amdhsa_float_denorm_mode_32 3
		.amdhsa_float_denorm_mode_16_64 3
		.amdhsa_fp16_overflow 0
		.amdhsa_memory_ordered 1
		.amdhsa_forward_progress 1
		.amdhsa_inst_pref_size 1
		.amdhsa_round_robin_scheduling 0
		.amdhsa_exception_fp_ieee_invalid_op 0
		.amdhsa_exception_fp_denorm_src 0
		.amdhsa_exception_fp_ieee_div_zero 0
		.amdhsa_exception_fp_ieee_overflow 0
		.amdhsa_exception_fp_ieee_underflow 0
		.amdhsa_exception_fp_ieee_inexact 0
		.amdhsa_exception_int_div_zero 0
	.end_amdhsa_kernel
	.section	.text._Z21device_test_warp_maskILj51EEvP10TestStatus,"axG",@progbits,_Z21device_test_warp_maskILj51EEvP10TestStatus,comdat
.Lfunc_end100:
	.size	_Z21device_test_warp_maskILj51EEvP10TestStatus, .Lfunc_end100-_Z21device_test_warp_maskILj51EEvP10TestStatus
                                        ; -- End function
	.set _Z21device_test_warp_maskILj51EEvP10TestStatus.num_vgpr, 2
	.set _Z21device_test_warp_maskILj51EEvP10TestStatus.num_agpr, 0
	.set _Z21device_test_warp_maskILj51EEvP10TestStatus.numbered_sgpr, 2
	.set _Z21device_test_warp_maskILj51EEvP10TestStatus.num_named_barrier, 0
	.set _Z21device_test_warp_maskILj51EEvP10TestStatus.private_seg_size, 0
	.set _Z21device_test_warp_maskILj51EEvP10TestStatus.uses_vcc, 0
	.set _Z21device_test_warp_maskILj51EEvP10TestStatus.uses_flat_scratch, 0
	.set _Z21device_test_warp_maskILj51EEvP10TestStatus.has_dyn_sized_stack, 0
	.set _Z21device_test_warp_maskILj51EEvP10TestStatus.has_recursion, 0
	.set _Z21device_test_warp_maskILj51EEvP10TestStatus.has_indirect_call, 0
	.section	.AMDGPU.csdata,"",@progbits
; Kernel info:
; codeLenInByte = 32
; TotalNumSgprs: 2
; NumVgprs: 2
; ScratchSize: 0
; MemoryBound: 0
; FloatMode: 240
; IeeeMode: 1
; LDSByteSize: 0 bytes/workgroup (compile time only)
; SGPRBlocks: 0
; VGPRBlocks: 0
; NumSGPRsForWavesPerEU: 2
; NumVGPRsForWavesPerEU: 2
; NamedBarCnt: 0
; Occupancy: 16
; WaveLimiterHint : 0
; COMPUTE_PGM_RSRC2:SCRATCH_EN: 0
; COMPUTE_PGM_RSRC2:USER_SGPR: 2
; COMPUTE_PGM_RSRC2:TRAP_HANDLER: 0
; COMPUTE_PGM_RSRC2:TGID_X_EN: 1
; COMPUTE_PGM_RSRC2:TGID_Y_EN: 0
; COMPUTE_PGM_RSRC2:TGID_Z_EN: 0
; COMPUTE_PGM_RSRC2:TIDIG_COMP_CNT: 0
	.section	.text._Z21device_test_warp_maskILj52EEvP10TestStatus,"axG",@progbits,_Z21device_test_warp_maskILj52EEvP10TestStatus,comdat
	.protected	_Z21device_test_warp_maskILj52EEvP10TestStatus ; -- Begin function _Z21device_test_warp_maskILj52EEvP10TestStatus
	.globl	_Z21device_test_warp_maskILj52EEvP10TestStatus
	.p2align	8
	.type	_Z21device_test_warp_maskILj52EEvP10TestStatus,@function
_Z21device_test_warp_maskILj52EEvP10TestStatus: ; @_Z21device_test_warp_maskILj52EEvP10TestStatus
; %bb.0:
	s_load_b64 s[0:1], s[0:1], 0x0
	v_mov_b32_e32 v1, 1
	s_wait_kmcnt 0x0
	global_store_b8 v0, v1, s[0:1]
	s_endpgm
	.section	.rodata,"a",@progbits
	.p2align	6, 0x0
	.amdhsa_kernel _Z21device_test_warp_maskILj52EEvP10TestStatus
		.amdhsa_group_segment_fixed_size 0
		.amdhsa_private_segment_fixed_size 0
		.amdhsa_kernarg_size 8
		.amdhsa_user_sgpr_count 2
		.amdhsa_user_sgpr_dispatch_ptr 0
		.amdhsa_user_sgpr_queue_ptr 0
		.amdhsa_user_sgpr_kernarg_segment_ptr 1
		.amdhsa_user_sgpr_dispatch_id 0
		.amdhsa_user_sgpr_kernarg_preload_length 0
		.amdhsa_user_sgpr_kernarg_preload_offset 0
		.amdhsa_user_sgpr_private_segment_size 0
		.amdhsa_wavefront_size32 1
		.amdhsa_uses_dynamic_stack 0
		.amdhsa_enable_private_segment 0
		.amdhsa_system_sgpr_workgroup_id_x 1
		.amdhsa_system_sgpr_workgroup_id_y 0
		.amdhsa_system_sgpr_workgroup_id_z 0
		.amdhsa_system_sgpr_workgroup_info 0
		.amdhsa_system_vgpr_workitem_id 0
		.amdhsa_next_free_vgpr 2
		.amdhsa_next_free_sgpr 2
		.amdhsa_named_barrier_count 0
		.amdhsa_reserve_vcc 0
		.amdhsa_float_round_mode_32 0
		.amdhsa_float_round_mode_16_64 0
		.amdhsa_float_denorm_mode_32 3
		.amdhsa_float_denorm_mode_16_64 3
		.amdhsa_fp16_overflow 0
		.amdhsa_memory_ordered 1
		.amdhsa_forward_progress 1
		.amdhsa_inst_pref_size 1
		.amdhsa_round_robin_scheduling 0
		.amdhsa_exception_fp_ieee_invalid_op 0
		.amdhsa_exception_fp_denorm_src 0
		.amdhsa_exception_fp_ieee_div_zero 0
		.amdhsa_exception_fp_ieee_overflow 0
		.amdhsa_exception_fp_ieee_underflow 0
		.amdhsa_exception_fp_ieee_inexact 0
		.amdhsa_exception_int_div_zero 0
	.end_amdhsa_kernel
	.section	.text._Z21device_test_warp_maskILj52EEvP10TestStatus,"axG",@progbits,_Z21device_test_warp_maskILj52EEvP10TestStatus,comdat
.Lfunc_end101:
	.size	_Z21device_test_warp_maskILj52EEvP10TestStatus, .Lfunc_end101-_Z21device_test_warp_maskILj52EEvP10TestStatus
                                        ; -- End function
	.set _Z21device_test_warp_maskILj52EEvP10TestStatus.num_vgpr, 2
	.set _Z21device_test_warp_maskILj52EEvP10TestStatus.num_agpr, 0
	.set _Z21device_test_warp_maskILj52EEvP10TestStatus.numbered_sgpr, 2
	.set _Z21device_test_warp_maskILj52EEvP10TestStatus.num_named_barrier, 0
	.set _Z21device_test_warp_maskILj52EEvP10TestStatus.private_seg_size, 0
	.set _Z21device_test_warp_maskILj52EEvP10TestStatus.uses_vcc, 0
	.set _Z21device_test_warp_maskILj52EEvP10TestStatus.uses_flat_scratch, 0
	.set _Z21device_test_warp_maskILj52EEvP10TestStatus.has_dyn_sized_stack, 0
	.set _Z21device_test_warp_maskILj52EEvP10TestStatus.has_recursion, 0
	.set _Z21device_test_warp_maskILj52EEvP10TestStatus.has_indirect_call, 0
	.section	.AMDGPU.csdata,"",@progbits
; Kernel info:
; codeLenInByte = 32
; TotalNumSgprs: 2
; NumVgprs: 2
; ScratchSize: 0
; MemoryBound: 0
; FloatMode: 240
; IeeeMode: 1
; LDSByteSize: 0 bytes/workgroup (compile time only)
; SGPRBlocks: 0
; VGPRBlocks: 0
; NumSGPRsForWavesPerEU: 2
; NumVGPRsForWavesPerEU: 2
; NamedBarCnt: 0
; Occupancy: 16
; WaveLimiterHint : 0
; COMPUTE_PGM_RSRC2:SCRATCH_EN: 0
; COMPUTE_PGM_RSRC2:USER_SGPR: 2
; COMPUTE_PGM_RSRC2:TRAP_HANDLER: 0
; COMPUTE_PGM_RSRC2:TGID_X_EN: 1
; COMPUTE_PGM_RSRC2:TGID_Y_EN: 0
; COMPUTE_PGM_RSRC2:TGID_Z_EN: 0
; COMPUTE_PGM_RSRC2:TIDIG_COMP_CNT: 0
	.section	.text._Z21device_test_warp_maskILj53EEvP10TestStatus,"axG",@progbits,_Z21device_test_warp_maskILj53EEvP10TestStatus,comdat
	.protected	_Z21device_test_warp_maskILj53EEvP10TestStatus ; -- Begin function _Z21device_test_warp_maskILj53EEvP10TestStatus
	.globl	_Z21device_test_warp_maskILj53EEvP10TestStatus
	.p2align	8
	.type	_Z21device_test_warp_maskILj53EEvP10TestStatus,@function
_Z21device_test_warp_maskILj53EEvP10TestStatus: ; @_Z21device_test_warp_maskILj53EEvP10TestStatus
; %bb.0:
	s_load_b64 s[0:1], s[0:1], 0x0
	v_mov_b32_e32 v1, 1
	s_wait_kmcnt 0x0
	global_store_b8 v0, v1, s[0:1]
	s_endpgm
	.section	.rodata,"a",@progbits
	.p2align	6, 0x0
	.amdhsa_kernel _Z21device_test_warp_maskILj53EEvP10TestStatus
		.amdhsa_group_segment_fixed_size 0
		.amdhsa_private_segment_fixed_size 0
		.amdhsa_kernarg_size 8
		.amdhsa_user_sgpr_count 2
		.amdhsa_user_sgpr_dispatch_ptr 0
		.amdhsa_user_sgpr_queue_ptr 0
		.amdhsa_user_sgpr_kernarg_segment_ptr 1
		.amdhsa_user_sgpr_dispatch_id 0
		.amdhsa_user_sgpr_kernarg_preload_length 0
		.amdhsa_user_sgpr_kernarg_preload_offset 0
		.amdhsa_user_sgpr_private_segment_size 0
		.amdhsa_wavefront_size32 1
		.amdhsa_uses_dynamic_stack 0
		.amdhsa_enable_private_segment 0
		.amdhsa_system_sgpr_workgroup_id_x 1
		.amdhsa_system_sgpr_workgroup_id_y 0
		.amdhsa_system_sgpr_workgroup_id_z 0
		.amdhsa_system_sgpr_workgroup_info 0
		.amdhsa_system_vgpr_workitem_id 0
		.amdhsa_next_free_vgpr 2
		.amdhsa_next_free_sgpr 2
		.amdhsa_named_barrier_count 0
		.amdhsa_reserve_vcc 0
		.amdhsa_float_round_mode_32 0
		.amdhsa_float_round_mode_16_64 0
		.amdhsa_float_denorm_mode_32 3
		.amdhsa_float_denorm_mode_16_64 3
		.amdhsa_fp16_overflow 0
		.amdhsa_memory_ordered 1
		.amdhsa_forward_progress 1
		.amdhsa_inst_pref_size 1
		.amdhsa_round_robin_scheduling 0
		.amdhsa_exception_fp_ieee_invalid_op 0
		.amdhsa_exception_fp_denorm_src 0
		.amdhsa_exception_fp_ieee_div_zero 0
		.amdhsa_exception_fp_ieee_overflow 0
		.amdhsa_exception_fp_ieee_underflow 0
		.amdhsa_exception_fp_ieee_inexact 0
		.amdhsa_exception_int_div_zero 0
	.end_amdhsa_kernel
	.section	.text._Z21device_test_warp_maskILj53EEvP10TestStatus,"axG",@progbits,_Z21device_test_warp_maskILj53EEvP10TestStatus,comdat
.Lfunc_end102:
	.size	_Z21device_test_warp_maskILj53EEvP10TestStatus, .Lfunc_end102-_Z21device_test_warp_maskILj53EEvP10TestStatus
                                        ; -- End function
	.set _Z21device_test_warp_maskILj53EEvP10TestStatus.num_vgpr, 2
	.set _Z21device_test_warp_maskILj53EEvP10TestStatus.num_agpr, 0
	.set _Z21device_test_warp_maskILj53EEvP10TestStatus.numbered_sgpr, 2
	.set _Z21device_test_warp_maskILj53EEvP10TestStatus.num_named_barrier, 0
	.set _Z21device_test_warp_maskILj53EEvP10TestStatus.private_seg_size, 0
	.set _Z21device_test_warp_maskILj53EEvP10TestStatus.uses_vcc, 0
	.set _Z21device_test_warp_maskILj53EEvP10TestStatus.uses_flat_scratch, 0
	.set _Z21device_test_warp_maskILj53EEvP10TestStatus.has_dyn_sized_stack, 0
	.set _Z21device_test_warp_maskILj53EEvP10TestStatus.has_recursion, 0
	.set _Z21device_test_warp_maskILj53EEvP10TestStatus.has_indirect_call, 0
	.section	.AMDGPU.csdata,"",@progbits
; Kernel info:
; codeLenInByte = 32
; TotalNumSgprs: 2
; NumVgprs: 2
; ScratchSize: 0
; MemoryBound: 0
; FloatMode: 240
; IeeeMode: 1
; LDSByteSize: 0 bytes/workgroup (compile time only)
; SGPRBlocks: 0
; VGPRBlocks: 0
; NumSGPRsForWavesPerEU: 2
; NumVGPRsForWavesPerEU: 2
; NamedBarCnt: 0
; Occupancy: 16
; WaveLimiterHint : 0
; COMPUTE_PGM_RSRC2:SCRATCH_EN: 0
; COMPUTE_PGM_RSRC2:USER_SGPR: 2
; COMPUTE_PGM_RSRC2:TRAP_HANDLER: 0
; COMPUTE_PGM_RSRC2:TGID_X_EN: 1
; COMPUTE_PGM_RSRC2:TGID_Y_EN: 0
; COMPUTE_PGM_RSRC2:TGID_Z_EN: 0
; COMPUTE_PGM_RSRC2:TIDIG_COMP_CNT: 0
	.section	.text._Z21device_test_warp_maskILj54EEvP10TestStatus,"axG",@progbits,_Z21device_test_warp_maskILj54EEvP10TestStatus,comdat
	.protected	_Z21device_test_warp_maskILj54EEvP10TestStatus ; -- Begin function _Z21device_test_warp_maskILj54EEvP10TestStatus
	.globl	_Z21device_test_warp_maskILj54EEvP10TestStatus
	.p2align	8
	.type	_Z21device_test_warp_maskILj54EEvP10TestStatus,@function
_Z21device_test_warp_maskILj54EEvP10TestStatus: ; @_Z21device_test_warp_maskILj54EEvP10TestStatus
; %bb.0:
	s_load_b64 s[0:1], s[0:1], 0x0
	v_mov_b32_e32 v1, 1
	s_wait_kmcnt 0x0
	global_store_b8 v0, v1, s[0:1]
	s_endpgm
	.section	.rodata,"a",@progbits
	.p2align	6, 0x0
	.amdhsa_kernel _Z21device_test_warp_maskILj54EEvP10TestStatus
		.amdhsa_group_segment_fixed_size 0
		.amdhsa_private_segment_fixed_size 0
		.amdhsa_kernarg_size 8
		.amdhsa_user_sgpr_count 2
		.amdhsa_user_sgpr_dispatch_ptr 0
		.amdhsa_user_sgpr_queue_ptr 0
		.amdhsa_user_sgpr_kernarg_segment_ptr 1
		.amdhsa_user_sgpr_dispatch_id 0
		.amdhsa_user_sgpr_kernarg_preload_length 0
		.amdhsa_user_sgpr_kernarg_preload_offset 0
		.amdhsa_user_sgpr_private_segment_size 0
		.amdhsa_wavefront_size32 1
		.amdhsa_uses_dynamic_stack 0
		.amdhsa_enable_private_segment 0
		.amdhsa_system_sgpr_workgroup_id_x 1
		.amdhsa_system_sgpr_workgroup_id_y 0
		.amdhsa_system_sgpr_workgroup_id_z 0
		.amdhsa_system_sgpr_workgroup_info 0
		.amdhsa_system_vgpr_workitem_id 0
		.amdhsa_next_free_vgpr 2
		.amdhsa_next_free_sgpr 2
		.amdhsa_named_barrier_count 0
		.amdhsa_reserve_vcc 0
		.amdhsa_float_round_mode_32 0
		.amdhsa_float_round_mode_16_64 0
		.amdhsa_float_denorm_mode_32 3
		.amdhsa_float_denorm_mode_16_64 3
		.amdhsa_fp16_overflow 0
		.amdhsa_memory_ordered 1
		.amdhsa_forward_progress 1
		.amdhsa_inst_pref_size 1
		.amdhsa_round_robin_scheduling 0
		.amdhsa_exception_fp_ieee_invalid_op 0
		.amdhsa_exception_fp_denorm_src 0
		.amdhsa_exception_fp_ieee_div_zero 0
		.amdhsa_exception_fp_ieee_overflow 0
		.amdhsa_exception_fp_ieee_underflow 0
		.amdhsa_exception_fp_ieee_inexact 0
		.amdhsa_exception_int_div_zero 0
	.end_amdhsa_kernel
	.section	.text._Z21device_test_warp_maskILj54EEvP10TestStatus,"axG",@progbits,_Z21device_test_warp_maskILj54EEvP10TestStatus,comdat
.Lfunc_end103:
	.size	_Z21device_test_warp_maskILj54EEvP10TestStatus, .Lfunc_end103-_Z21device_test_warp_maskILj54EEvP10TestStatus
                                        ; -- End function
	.set _Z21device_test_warp_maskILj54EEvP10TestStatus.num_vgpr, 2
	.set _Z21device_test_warp_maskILj54EEvP10TestStatus.num_agpr, 0
	.set _Z21device_test_warp_maskILj54EEvP10TestStatus.numbered_sgpr, 2
	.set _Z21device_test_warp_maskILj54EEvP10TestStatus.num_named_barrier, 0
	.set _Z21device_test_warp_maskILj54EEvP10TestStatus.private_seg_size, 0
	.set _Z21device_test_warp_maskILj54EEvP10TestStatus.uses_vcc, 0
	.set _Z21device_test_warp_maskILj54EEvP10TestStatus.uses_flat_scratch, 0
	.set _Z21device_test_warp_maskILj54EEvP10TestStatus.has_dyn_sized_stack, 0
	.set _Z21device_test_warp_maskILj54EEvP10TestStatus.has_recursion, 0
	.set _Z21device_test_warp_maskILj54EEvP10TestStatus.has_indirect_call, 0
	.section	.AMDGPU.csdata,"",@progbits
; Kernel info:
; codeLenInByte = 32
; TotalNumSgprs: 2
; NumVgprs: 2
; ScratchSize: 0
; MemoryBound: 0
; FloatMode: 240
; IeeeMode: 1
; LDSByteSize: 0 bytes/workgroup (compile time only)
; SGPRBlocks: 0
; VGPRBlocks: 0
; NumSGPRsForWavesPerEU: 2
; NumVGPRsForWavesPerEU: 2
; NamedBarCnt: 0
; Occupancy: 16
; WaveLimiterHint : 0
; COMPUTE_PGM_RSRC2:SCRATCH_EN: 0
; COMPUTE_PGM_RSRC2:USER_SGPR: 2
; COMPUTE_PGM_RSRC2:TRAP_HANDLER: 0
; COMPUTE_PGM_RSRC2:TGID_X_EN: 1
; COMPUTE_PGM_RSRC2:TGID_Y_EN: 0
; COMPUTE_PGM_RSRC2:TGID_Z_EN: 0
; COMPUTE_PGM_RSRC2:TIDIG_COMP_CNT: 0
	.section	.text._Z21device_test_warp_maskILj55EEvP10TestStatus,"axG",@progbits,_Z21device_test_warp_maskILj55EEvP10TestStatus,comdat
	.protected	_Z21device_test_warp_maskILj55EEvP10TestStatus ; -- Begin function _Z21device_test_warp_maskILj55EEvP10TestStatus
	.globl	_Z21device_test_warp_maskILj55EEvP10TestStatus
	.p2align	8
	.type	_Z21device_test_warp_maskILj55EEvP10TestStatus,@function
_Z21device_test_warp_maskILj55EEvP10TestStatus: ; @_Z21device_test_warp_maskILj55EEvP10TestStatus
; %bb.0:
	s_load_b64 s[0:1], s[0:1], 0x0
	v_mov_b32_e32 v1, 1
	s_wait_kmcnt 0x0
	global_store_b8 v0, v1, s[0:1]
	s_endpgm
	.section	.rodata,"a",@progbits
	.p2align	6, 0x0
	.amdhsa_kernel _Z21device_test_warp_maskILj55EEvP10TestStatus
		.amdhsa_group_segment_fixed_size 0
		.amdhsa_private_segment_fixed_size 0
		.amdhsa_kernarg_size 8
		.amdhsa_user_sgpr_count 2
		.amdhsa_user_sgpr_dispatch_ptr 0
		.amdhsa_user_sgpr_queue_ptr 0
		.amdhsa_user_sgpr_kernarg_segment_ptr 1
		.amdhsa_user_sgpr_dispatch_id 0
		.amdhsa_user_sgpr_kernarg_preload_length 0
		.amdhsa_user_sgpr_kernarg_preload_offset 0
		.amdhsa_user_sgpr_private_segment_size 0
		.amdhsa_wavefront_size32 1
		.amdhsa_uses_dynamic_stack 0
		.amdhsa_enable_private_segment 0
		.amdhsa_system_sgpr_workgroup_id_x 1
		.amdhsa_system_sgpr_workgroup_id_y 0
		.amdhsa_system_sgpr_workgroup_id_z 0
		.amdhsa_system_sgpr_workgroup_info 0
		.amdhsa_system_vgpr_workitem_id 0
		.amdhsa_next_free_vgpr 2
		.amdhsa_next_free_sgpr 2
		.amdhsa_named_barrier_count 0
		.amdhsa_reserve_vcc 0
		.amdhsa_float_round_mode_32 0
		.amdhsa_float_round_mode_16_64 0
		.amdhsa_float_denorm_mode_32 3
		.amdhsa_float_denorm_mode_16_64 3
		.amdhsa_fp16_overflow 0
		.amdhsa_memory_ordered 1
		.amdhsa_forward_progress 1
		.amdhsa_inst_pref_size 1
		.amdhsa_round_robin_scheduling 0
		.amdhsa_exception_fp_ieee_invalid_op 0
		.amdhsa_exception_fp_denorm_src 0
		.amdhsa_exception_fp_ieee_div_zero 0
		.amdhsa_exception_fp_ieee_overflow 0
		.amdhsa_exception_fp_ieee_underflow 0
		.amdhsa_exception_fp_ieee_inexact 0
		.amdhsa_exception_int_div_zero 0
	.end_amdhsa_kernel
	.section	.text._Z21device_test_warp_maskILj55EEvP10TestStatus,"axG",@progbits,_Z21device_test_warp_maskILj55EEvP10TestStatus,comdat
.Lfunc_end104:
	.size	_Z21device_test_warp_maskILj55EEvP10TestStatus, .Lfunc_end104-_Z21device_test_warp_maskILj55EEvP10TestStatus
                                        ; -- End function
	.set _Z21device_test_warp_maskILj55EEvP10TestStatus.num_vgpr, 2
	.set _Z21device_test_warp_maskILj55EEvP10TestStatus.num_agpr, 0
	.set _Z21device_test_warp_maskILj55EEvP10TestStatus.numbered_sgpr, 2
	.set _Z21device_test_warp_maskILj55EEvP10TestStatus.num_named_barrier, 0
	.set _Z21device_test_warp_maskILj55EEvP10TestStatus.private_seg_size, 0
	.set _Z21device_test_warp_maskILj55EEvP10TestStatus.uses_vcc, 0
	.set _Z21device_test_warp_maskILj55EEvP10TestStatus.uses_flat_scratch, 0
	.set _Z21device_test_warp_maskILj55EEvP10TestStatus.has_dyn_sized_stack, 0
	.set _Z21device_test_warp_maskILj55EEvP10TestStatus.has_recursion, 0
	.set _Z21device_test_warp_maskILj55EEvP10TestStatus.has_indirect_call, 0
	.section	.AMDGPU.csdata,"",@progbits
; Kernel info:
; codeLenInByte = 32
; TotalNumSgprs: 2
; NumVgprs: 2
; ScratchSize: 0
; MemoryBound: 0
; FloatMode: 240
; IeeeMode: 1
; LDSByteSize: 0 bytes/workgroup (compile time only)
; SGPRBlocks: 0
; VGPRBlocks: 0
; NumSGPRsForWavesPerEU: 2
; NumVGPRsForWavesPerEU: 2
; NamedBarCnt: 0
; Occupancy: 16
; WaveLimiterHint : 0
; COMPUTE_PGM_RSRC2:SCRATCH_EN: 0
; COMPUTE_PGM_RSRC2:USER_SGPR: 2
; COMPUTE_PGM_RSRC2:TRAP_HANDLER: 0
; COMPUTE_PGM_RSRC2:TGID_X_EN: 1
; COMPUTE_PGM_RSRC2:TGID_Y_EN: 0
; COMPUTE_PGM_RSRC2:TGID_Z_EN: 0
; COMPUTE_PGM_RSRC2:TIDIG_COMP_CNT: 0
	.section	.text._Z21device_test_warp_maskILj56EEvP10TestStatus,"axG",@progbits,_Z21device_test_warp_maskILj56EEvP10TestStatus,comdat
	.protected	_Z21device_test_warp_maskILj56EEvP10TestStatus ; -- Begin function _Z21device_test_warp_maskILj56EEvP10TestStatus
	.globl	_Z21device_test_warp_maskILj56EEvP10TestStatus
	.p2align	8
	.type	_Z21device_test_warp_maskILj56EEvP10TestStatus,@function
_Z21device_test_warp_maskILj56EEvP10TestStatus: ; @_Z21device_test_warp_maskILj56EEvP10TestStatus
; %bb.0:
	s_load_b64 s[0:1], s[0:1], 0x0
	v_mov_b32_e32 v1, 1
	s_wait_kmcnt 0x0
	global_store_b8 v0, v1, s[0:1]
	s_endpgm
	.section	.rodata,"a",@progbits
	.p2align	6, 0x0
	.amdhsa_kernel _Z21device_test_warp_maskILj56EEvP10TestStatus
		.amdhsa_group_segment_fixed_size 0
		.amdhsa_private_segment_fixed_size 0
		.amdhsa_kernarg_size 8
		.amdhsa_user_sgpr_count 2
		.amdhsa_user_sgpr_dispatch_ptr 0
		.amdhsa_user_sgpr_queue_ptr 0
		.amdhsa_user_sgpr_kernarg_segment_ptr 1
		.amdhsa_user_sgpr_dispatch_id 0
		.amdhsa_user_sgpr_kernarg_preload_length 0
		.amdhsa_user_sgpr_kernarg_preload_offset 0
		.amdhsa_user_sgpr_private_segment_size 0
		.amdhsa_wavefront_size32 1
		.amdhsa_uses_dynamic_stack 0
		.amdhsa_enable_private_segment 0
		.amdhsa_system_sgpr_workgroup_id_x 1
		.amdhsa_system_sgpr_workgroup_id_y 0
		.amdhsa_system_sgpr_workgroup_id_z 0
		.amdhsa_system_sgpr_workgroup_info 0
		.amdhsa_system_vgpr_workitem_id 0
		.amdhsa_next_free_vgpr 2
		.amdhsa_next_free_sgpr 2
		.amdhsa_named_barrier_count 0
		.amdhsa_reserve_vcc 0
		.amdhsa_float_round_mode_32 0
		.amdhsa_float_round_mode_16_64 0
		.amdhsa_float_denorm_mode_32 3
		.amdhsa_float_denorm_mode_16_64 3
		.amdhsa_fp16_overflow 0
		.amdhsa_memory_ordered 1
		.amdhsa_forward_progress 1
		.amdhsa_inst_pref_size 1
		.amdhsa_round_robin_scheduling 0
		.amdhsa_exception_fp_ieee_invalid_op 0
		.amdhsa_exception_fp_denorm_src 0
		.amdhsa_exception_fp_ieee_div_zero 0
		.amdhsa_exception_fp_ieee_overflow 0
		.amdhsa_exception_fp_ieee_underflow 0
		.amdhsa_exception_fp_ieee_inexact 0
		.amdhsa_exception_int_div_zero 0
	.end_amdhsa_kernel
	.section	.text._Z21device_test_warp_maskILj56EEvP10TestStatus,"axG",@progbits,_Z21device_test_warp_maskILj56EEvP10TestStatus,comdat
.Lfunc_end105:
	.size	_Z21device_test_warp_maskILj56EEvP10TestStatus, .Lfunc_end105-_Z21device_test_warp_maskILj56EEvP10TestStatus
                                        ; -- End function
	.set _Z21device_test_warp_maskILj56EEvP10TestStatus.num_vgpr, 2
	.set _Z21device_test_warp_maskILj56EEvP10TestStatus.num_agpr, 0
	.set _Z21device_test_warp_maskILj56EEvP10TestStatus.numbered_sgpr, 2
	.set _Z21device_test_warp_maskILj56EEvP10TestStatus.num_named_barrier, 0
	.set _Z21device_test_warp_maskILj56EEvP10TestStatus.private_seg_size, 0
	.set _Z21device_test_warp_maskILj56EEvP10TestStatus.uses_vcc, 0
	.set _Z21device_test_warp_maskILj56EEvP10TestStatus.uses_flat_scratch, 0
	.set _Z21device_test_warp_maskILj56EEvP10TestStatus.has_dyn_sized_stack, 0
	.set _Z21device_test_warp_maskILj56EEvP10TestStatus.has_recursion, 0
	.set _Z21device_test_warp_maskILj56EEvP10TestStatus.has_indirect_call, 0
	.section	.AMDGPU.csdata,"",@progbits
; Kernel info:
; codeLenInByte = 32
; TotalNumSgprs: 2
; NumVgprs: 2
; ScratchSize: 0
; MemoryBound: 0
; FloatMode: 240
; IeeeMode: 1
; LDSByteSize: 0 bytes/workgroup (compile time only)
; SGPRBlocks: 0
; VGPRBlocks: 0
; NumSGPRsForWavesPerEU: 2
; NumVGPRsForWavesPerEU: 2
; NamedBarCnt: 0
; Occupancy: 16
; WaveLimiterHint : 0
; COMPUTE_PGM_RSRC2:SCRATCH_EN: 0
; COMPUTE_PGM_RSRC2:USER_SGPR: 2
; COMPUTE_PGM_RSRC2:TRAP_HANDLER: 0
; COMPUTE_PGM_RSRC2:TGID_X_EN: 1
; COMPUTE_PGM_RSRC2:TGID_Y_EN: 0
; COMPUTE_PGM_RSRC2:TGID_Z_EN: 0
; COMPUTE_PGM_RSRC2:TIDIG_COMP_CNT: 0
	.section	.text._Z21device_test_warp_maskILj57EEvP10TestStatus,"axG",@progbits,_Z21device_test_warp_maskILj57EEvP10TestStatus,comdat
	.protected	_Z21device_test_warp_maskILj57EEvP10TestStatus ; -- Begin function _Z21device_test_warp_maskILj57EEvP10TestStatus
	.globl	_Z21device_test_warp_maskILj57EEvP10TestStatus
	.p2align	8
	.type	_Z21device_test_warp_maskILj57EEvP10TestStatus,@function
_Z21device_test_warp_maskILj57EEvP10TestStatus: ; @_Z21device_test_warp_maskILj57EEvP10TestStatus
; %bb.0:
	s_load_b64 s[0:1], s[0:1], 0x0
	v_mov_b32_e32 v1, 1
	s_wait_kmcnt 0x0
	global_store_b8 v0, v1, s[0:1]
	s_endpgm
	.section	.rodata,"a",@progbits
	.p2align	6, 0x0
	.amdhsa_kernel _Z21device_test_warp_maskILj57EEvP10TestStatus
		.amdhsa_group_segment_fixed_size 0
		.amdhsa_private_segment_fixed_size 0
		.amdhsa_kernarg_size 8
		.amdhsa_user_sgpr_count 2
		.amdhsa_user_sgpr_dispatch_ptr 0
		.amdhsa_user_sgpr_queue_ptr 0
		.amdhsa_user_sgpr_kernarg_segment_ptr 1
		.amdhsa_user_sgpr_dispatch_id 0
		.amdhsa_user_sgpr_kernarg_preload_length 0
		.amdhsa_user_sgpr_kernarg_preload_offset 0
		.amdhsa_user_sgpr_private_segment_size 0
		.amdhsa_wavefront_size32 1
		.amdhsa_uses_dynamic_stack 0
		.amdhsa_enable_private_segment 0
		.amdhsa_system_sgpr_workgroup_id_x 1
		.amdhsa_system_sgpr_workgroup_id_y 0
		.amdhsa_system_sgpr_workgroup_id_z 0
		.amdhsa_system_sgpr_workgroup_info 0
		.amdhsa_system_vgpr_workitem_id 0
		.amdhsa_next_free_vgpr 2
		.amdhsa_next_free_sgpr 2
		.amdhsa_named_barrier_count 0
		.amdhsa_reserve_vcc 0
		.amdhsa_float_round_mode_32 0
		.amdhsa_float_round_mode_16_64 0
		.amdhsa_float_denorm_mode_32 3
		.amdhsa_float_denorm_mode_16_64 3
		.amdhsa_fp16_overflow 0
		.amdhsa_memory_ordered 1
		.amdhsa_forward_progress 1
		.amdhsa_inst_pref_size 1
		.amdhsa_round_robin_scheduling 0
		.amdhsa_exception_fp_ieee_invalid_op 0
		.amdhsa_exception_fp_denorm_src 0
		.amdhsa_exception_fp_ieee_div_zero 0
		.amdhsa_exception_fp_ieee_overflow 0
		.amdhsa_exception_fp_ieee_underflow 0
		.amdhsa_exception_fp_ieee_inexact 0
		.amdhsa_exception_int_div_zero 0
	.end_amdhsa_kernel
	.section	.text._Z21device_test_warp_maskILj57EEvP10TestStatus,"axG",@progbits,_Z21device_test_warp_maskILj57EEvP10TestStatus,comdat
.Lfunc_end106:
	.size	_Z21device_test_warp_maskILj57EEvP10TestStatus, .Lfunc_end106-_Z21device_test_warp_maskILj57EEvP10TestStatus
                                        ; -- End function
	.set _Z21device_test_warp_maskILj57EEvP10TestStatus.num_vgpr, 2
	.set _Z21device_test_warp_maskILj57EEvP10TestStatus.num_agpr, 0
	.set _Z21device_test_warp_maskILj57EEvP10TestStatus.numbered_sgpr, 2
	.set _Z21device_test_warp_maskILj57EEvP10TestStatus.num_named_barrier, 0
	.set _Z21device_test_warp_maskILj57EEvP10TestStatus.private_seg_size, 0
	.set _Z21device_test_warp_maskILj57EEvP10TestStatus.uses_vcc, 0
	.set _Z21device_test_warp_maskILj57EEvP10TestStatus.uses_flat_scratch, 0
	.set _Z21device_test_warp_maskILj57EEvP10TestStatus.has_dyn_sized_stack, 0
	.set _Z21device_test_warp_maskILj57EEvP10TestStatus.has_recursion, 0
	.set _Z21device_test_warp_maskILj57EEvP10TestStatus.has_indirect_call, 0
	.section	.AMDGPU.csdata,"",@progbits
; Kernel info:
; codeLenInByte = 32
; TotalNumSgprs: 2
; NumVgprs: 2
; ScratchSize: 0
; MemoryBound: 0
; FloatMode: 240
; IeeeMode: 1
; LDSByteSize: 0 bytes/workgroup (compile time only)
; SGPRBlocks: 0
; VGPRBlocks: 0
; NumSGPRsForWavesPerEU: 2
; NumVGPRsForWavesPerEU: 2
; NamedBarCnt: 0
; Occupancy: 16
; WaveLimiterHint : 0
; COMPUTE_PGM_RSRC2:SCRATCH_EN: 0
; COMPUTE_PGM_RSRC2:USER_SGPR: 2
; COMPUTE_PGM_RSRC2:TRAP_HANDLER: 0
; COMPUTE_PGM_RSRC2:TGID_X_EN: 1
; COMPUTE_PGM_RSRC2:TGID_Y_EN: 0
; COMPUTE_PGM_RSRC2:TGID_Z_EN: 0
; COMPUTE_PGM_RSRC2:TIDIG_COMP_CNT: 0
	.section	.text._Z21device_test_warp_maskILj58EEvP10TestStatus,"axG",@progbits,_Z21device_test_warp_maskILj58EEvP10TestStatus,comdat
	.protected	_Z21device_test_warp_maskILj58EEvP10TestStatus ; -- Begin function _Z21device_test_warp_maskILj58EEvP10TestStatus
	.globl	_Z21device_test_warp_maskILj58EEvP10TestStatus
	.p2align	8
	.type	_Z21device_test_warp_maskILj58EEvP10TestStatus,@function
_Z21device_test_warp_maskILj58EEvP10TestStatus: ; @_Z21device_test_warp_maskILj58EEvP10TestStatus
; %bb.0:
	s_load_b64 s[0:1], s[0:1], 0x0
	v_mov_b32_e32 v1, 1
	s_wait_kmcnt 0x0
	global_store_b8 v0, v1, s[0:1]
	s_endpgm
	.section	.rodata,"a",@progbits
	.p2align	6, 0x0
	.amdhsa_kernel _Z21device_test_warp_maskILj58EEvP10TestStatus
		.amdhsa_group_segment_fixed_size 0
		.amdhsa_private_segment_fixed_size 0
		.amdhsa_kernarg_size 8
		.amdhsa_user_sgpr_count 2
		.amdhsa_user_sgpr_dispatch_ptr 0
		.amdhsa_user_sgpr_queue_ptr 0
		.amdhsa_user_sgpr_kernarg_segment_ptr 1
		.amdhsa_user_sgpr_dispatch_id 0
		.amdhsa_user_sgpr_kernarg_preload_length 0
		.amdhsa_user_sgpr_kernarg_preload_offset 0
		.amdhsa_user_sgpr_private_segment_size 0
		.amdhsa_wavefront_size32 1
		.amdhsa_uses_dynamic_stack 0
		.amdhsa_enable_private_segment 0
		.amdhsa_system_sgpr_workgroup_id_x 1
		.amdhsa_system_sgpr_workgroup_id_y 0
		.amdhsa_system_sgpr_workgroup_id_z 0
		.amdhsa_system_sgpr_workgroup_info 0
		.amdhsa_system_vgpr_workitem_id 0
		.amdhsa_next_free_vgpr 2
		.amdhsa_next_free_sgpr 2
		.amdhsa_named_barrier_count 0
		.amdhsa_reserve_vcc 0
		.amdhsa_float_round_mode_32 0
		.amdhsa_float_round_mode_16_64 0
		.amdhsa_float_denorm_mode_32 3
		.amdhsa_float_denorm_mode_16_64 3
		.amdhsa_fp16_overflow 0
		.amdhsa_memory_ordered 1
		.amdhsa_forward_progress 1
		.amdhsa_inst_pref_size 1
		.amdhsa_round_robin_scheduling 0
		.amdhsa_exception_fp_ieee_invalid_op 0
		.amdhsa_exception_fp_denorm_src 0
		.amdhsa_exception_fp_ieee_div_zero 0
		.amdhsa_exception_fp_ieee_overflow 0
		.amdhsa_exception_fp_ieee_underflow 0
		.amdhsa_exception_fp_ieee_inexact 0
		.amdhsa_exception_int_div_zero 0
	.end_amdhsa_kernel
	.section	.text._Z21device_test_warp_maskILj58EEvP10TestStatus,"axG",@progbits,_Z21device_test_warp_maskILj58EEvP10TestStatus,comdat
.Lfunc_end107:
	.size	_Z21device_test_warp_maskILj58EEvP10TestStatus, .Lfunc_end107-_Z21device_test_warp_maskILj58EEvP10TestStatus
                                        ; -- End function
	.set _Z21device_test_warp_maskILj58EEvP10TestStatus.num_vgpr, 2
	.set _Z21device_test_warp_maskILj58EEvP10TestStatus.num_agpr, 0
	.set _Z21device_test_warp_maskILj58EEvP10TestStatus.numbered_sgpr, 2
	.set _Z21device_test_warp_maskILj58EEvP10TestStatus.num_named_barrier, 0
	.set _Z21device_test_warp_maskILj58EEvP10TestStatus.private_seg_size, 0
	.set _Z21device_test_warp_maskILj58EEvP10TestStatus.uses_vcc, 0
	.set _Z21device_test_warp_maskILj58EEvP10TestStatus.uses_flat_scratch, 0
	.set _Z21device_test_warp_maskILj58EEvP10TestStatus.has_dyn_sized_stack, 0
	.set _Z21device_test_warp_maskILj58EEvP10TestStatus.has_recursion, 0
	.set _Z21device_test_warp_maskILj58EEvP10TestStatus.has_indirect_call, 0
	.section	.AMDGPU.csdata,"",@progbits
; Kernel info:
; codeLenInByte = 32
; TotalNumSgprs: 2
; NumVgprs: 2
; ScratchSize: 0
; MemoryBound: 0
; FloatMode: 240
; IeeeMode: 1
; LDSByteSize: 0 bytes/workgroup (compile time only)
; SGPRBlocks: 0
; VGPRBlocks: 0
; NumSGPRsForWavesPerEU: 2
; NumVGPRsForWavesPerEU: 2
; NamedBarCnt: 0
; Occupancy: 16
; WaveLimiterHint : 0
; COMPUTE_PGM_RSRC2:SCRATCH_EN: 0
; COMPUTE_PGM_RSRC2:USER_SGPR: 2
; COMPUTE_PGM_RSRC2:TRAP_HANDLER: 0
; COMPUTE_PGM_RSRC2:TGID_X_EN: 1
; COMPUTE_PGM_RSRC2:TGID_Y_EN: 0
; COMPUTE_PGM_RSRC2:TGID_Z_EN: 0
; COMPUTE_PGM_RSRC2:TIDIG_COMP_CNT: 0
	.section	.text._Z21device_test_warp_maskILj59EEvP10TestStatus,"axG",@progbits,_Z21device_test_warp_maskILj59EEvP10TestStatus,comdat
	.protected	_Z21device_test_warp_maskILj59EEvP10TestStatus ; -- Begin function _Z21device_test_warp_maskILj59EEvP10TestStatus
	.globl	_Z21device_test_warp_maskILj59EEvP10TestStatus
	.p2align	8
	.type	_Z21device_test_warp_maskILj59EEvP10TestStatus,@function
_Z21device_test_warp_maskILj59EEvP10TestStatus: ; @_Z21device_test_warp_maskILj59EEvP10TestStatus
; %bb.0:
	s_load_b64 s[0:1], s[0:1], 0x0
	v_mov_b32_e32 v1, 1
	s_wait_kmcnt 0x0
	global_store_b8 v0, v1, s[0:1]
	s_endpgm
	.section	.rodata,"a",@progbits
	.p2align	6, 0x0
	.amdhsa_kernel _Z21device_test_warp_maskILj59EEvP10TestStatus
		.amdhsa_group_segment_fixed_size 0
		.amdhsa_private_segment_fixed_size 0
		.amdhsa_kernarg_size 8
		.amdhsa_user_sgpr_count 2
		.amdhsa_user_sgpr_dispatch_ptr 0
		.amdhsa_user_sgpr_queue_ptr 0
		.amdhsa_user_sgpr_kernarg_segment_ptr 1
		.amdhsa_user_sgpr_dispatch_id 0
		.amdhsa_user_sgpr_kernarg_preload_length 0
		.amdhsa_user_sgpr_kernarg_preload_offset 0
		.amdhsa_user_sgpr_private_segment_size 0
		.amdhsa_wavefront_size32 1
		.amdhsa_uses_dynamic_stack 0
		.amdhsa_enable_private_segment 0
		.amdhsa_system_sgpr_workgroup_id_x 1
		.amdhsa_system_sgpr_workgroup_id_y 0
		.amdhsa_system_sgpr_workgroup_id_z 0
		.amdhsa_system_sgpr_workgroup_info 0
		.amdhsa_system_vgpr_workitem_id 0
		.amdhsa_next_free_vgpr 2
		.amdhsa_next_free_sgpr 2
		.amdhsa_named_barrier_count 0
		.amdhsa_reserve_vcc 0
		.amdhsa_float_round_mode_32 0
		.amdhsa_float_round_mode_16_64 0
		.amdhsa_float_denorm_mode_32 3
		.amdhsa_float_denorm_mode_16_64 3
		.amdhsa_fp16_overflow 0
		.amdhsa_memory_ordered 1
		.amdhsa_forward_progress 1
		.amdhsa_inst_pref_size 1
		.amdhsa_round_robin_scheduling 0
		.amdhsa_exception_fp_ieee_invalid_op 0
		.amdhsa_exception_fp_denorm_src 0
		.amdhsa_exception_fp_ieee_div_zero 0
		.amdhsa_exception_fp_ieee_overflow 0
		.amdhsa_exception_fp_ieee_underflow 0
		.amdhsa_exception_fp_ieee_inexact 0
		.amdhsa_exception_int_div_zero 0
	.end_amdhsa_kernel
	.section	.text._Z21device_test_warp_maskILj59EEvP10TestStatus,"axG",@progbits,_Z21device_test_warp_maskILj59EEvP10TestStatus,comdat
.Lfunc_end108:
	.size	_Z21device_test_warp_maskILj59EEvP10TestStatus, .Lfunc_end108-_Z21device_test_warp_maskILj59EEvP10TestStatus
                                        ; -- End function
	.set _Z21device_test_warp_maskILj59EEvP10TestStatus.num_vgpr, 2
	.set _Z21device_test_warp_maskILj59EEvP10TestStatus.num_agpr, 0
	.set _Z21device_test_warp_maskILj59EEvP10TestStatus.numbered_sgpr, 2
	.set _Z21device_test_warp_maskILj59EEvP10TestStatus.num_named_barrier, 0
	.set _Z21device_test_warp_maskILj59EEvP10TestStatus.private_seg_size, 0
	.set _Z21device_test_warp_maskILj59EEvP10TestStatus.uses_vcc, 0
	.set _Z21device_test_warp_maskILj59EEvP10TestStatus.uses_flat_scratch, 0
	.set _Z21device_test_warp_maskILj59EEvP10TestStatus.has_dyn_sized_stack, 0
	.set _Z21device_test_warp_maskILj59EEvP10TestStatus.has_recursion, 0
	.set _Z21device_test_warp_maskILj59EEvP10TestStatus.has_indirect_call, 0
	.section	.AMDGPU.csdata,"",@progbits
; Kernel info:
; codeLenInByte = 32
; TotalNumSgprs: 2
; NumVgprs: 2
; ScratchSize: 0
; MemoryBound: 0
; FloatMode: 240
; IeeeMode: 1
; LDSByteSize: 0 bytes/workgroup (compile time only)
; SGPRBlocks: 0
; VGPRBlocks: 0
; NumSGPRsForWavesPerEU: 2
; NumVGPRsForWavesPerEU: 2
; NamedBarCnt: 0
; Occupancy: 16
; WaveLimiterHint : 0
; COMPUTE_PGM_RSRC2:SCRATCH_EN: 0
; COMPUTE_PGM_RSRC2:USER_SGPR: 2
; COMPUTE_PGM_RSRC2:TRAP_HANDLER: 0
; COMPUTE_PGM_RSRC2:TGID_X_EN: 1
; COMPUTE_PGM_RSRC2:TGID_Y_EN: 0
; COMPUTE_PGM_RSRC2:TGID_Z_EN: 0
; COMPUTE_PGM_RSRC2:TIDIG_COMP_CNT: 0
	.section	.text._Z21device_test_warp_maskILj60EEvP10TestStatus,"axG",@progbits,_Z21device_test_warp_maskILj60EEvP10TestStatus,comdat
	.protected	_Z21device_test_warp_maskILj60EEvP10TestStatus ; -- Begin function _Z21device_test_warp_maskILj60EEvP10TestStatus
	.globl	_Z21device_test_warp_maskILj60EEvP10TestStatus
	.p2align	8
	.type	_Z21device_test_warp_maskILj60EEvP10TestStatus,@function
_Z21device_test_warp_maskILj60EEvP10TestStatus: ; @_Z21device_test_warp_maskILj60EEvP10TestStatus
; %bb.0:
	s_load_b64 s[0:1], s[0:1], 0x0
	v_mov_b32_e32 v1, 1
	s_wait_kmcnt 0x0
	global_store_b8 v0, v1, s[0:1]
	s_endpgm
	.section	.rodata,"a",@progbits
	.p2align	6, 0x0
	.amdhsa_kernel _Z21device_test_warp_maskILj60EEvP10TestStatus
		.amdhsa_group_segment_fixed_size 0
		.amdhsa_private_segment_fixed_size 0
		.amdhsa_kernarg_size 8
		.amdhsa_user_sgpr_count 2
		.amdhsa_user_sgpr_dispatch_ptr 0
		.amdhsa_user_sgpr_queue_ptr 0
		.amdhsa_user_sgpr_kernarg_segment_ptr 1
		.amdhsa_user_sgpr_dispatch_id 0
		.amdhsa_user_sgpr_kernarg_preload_length 0
		.amdhsa_user_sgpr_kernarg_preload_offset 0
		.amdhsa_user_sgpr_private_segment_size 0
		.amdhsa_wavefront_size32 1
		.amdhsa_uses_dynamic_stack 0
		.amdhsa_enable_private_segment 0
		.amdhsa_system_sgpr_workgroup_id_x 1
		.amdhsa_system_sgpr_workgroup_id_y 0
		.amdhsa_system_sgpr_workgroup_id_z 0
		.amdhsa_system_sgpr_workgroup_info 0
		.amdhsa_system_vgpr_workitem_id 0
		.amdhsa_next_free_vgpr 2
		.amdhsa_next_free_sgpr 2
		.amdhsa_named_barrier_count 0
		.amdhsa_reserve_vcc 0
		.amdhsa_float_round_mode_32 0
		.amdhsa_float_round_mode_16_64 0
		.amdhsa_float_denorm_mode_32 3
		.amdhsa_float_denorm_mode_16_64 3
		.amdhsa_fp16_overflow 0
		.amdhsa_memory_ordered 1
		.amdhsa_forward_progress 1
		.amdhsa_inst_pref_size 1
		.amdhsa_round_robin_scheduling 0
		.amdhsa_exception_fp_ieee_invalid_op 0
		.amdhsa_exception_fp_denorm_src 0
		.amdhsa_exception_fp_ieee_div_zero 0
		.amdhsa_exception_fp_ieee_overflow 0
		.amdhsa_exception_fp_ieee_underflow 0
		.amdhsa_exception_fp_ieee_inexact 0
		.amdhsa_exception_int_div_zero 0
	.end_amdhsa_kernel
	.section	.text._Z21device_test_warp_maskILj60EEvP10TestStatus,"axG",@progbits,_Z21device_test_warp_maskILj60EEvP10TestStatus,comdat
.Lfunc_end109:
	.size	_Z21device_test_warp_maskILj60EEvP10TestStatus, .Lfunc_end109-_Z21device_test_warp_maskILj60EEvP10TestStatus
                                        ; -- End function
	.set _Z21device_test_warp_maskILj60EEvP10TestStatus.num_vgpr, 2
	.set _Z21device_test_warp_maskILj60EEvP10TestStatus.num_agpr, 0
	.set _Z21device_test_warp_maskILj60EEvP10TestStatus.numbered_sgpr, 2
	.set _Z21device_test_warp_maskILj60EEvP10TestStatus.num_named_barrier, 0
	.set _Z21device_test_warp_maskILj60EEvP10TestStatus.private_seg_size, 0
	.set _Z21device_test_warp_maskILj60EEvP10TestStatus.uses_vcc, 0
	.set _Z21device_test_warp_maskILj60EEvP10TestStatus.uses_flat_scratch, 0
	.set _Z21device_test_warp_maskILj60EEvP10TestStatus.has_dyn_sized_stack, 0
	.set _Z21device_test_warp_maskILj60EEvP10TestStatus.has_recursion, 0
	.set _Z21device_test_warp_maskILj60EEvP10TestStatus.has_indirect_call, 0
	.section	.AMDGPU.csdata,"",@progbits
; Kernel info:
; codeLenInByte = 32
; TotalNumSgprs: 2
; NumVgprs: 2
; ScratchSize: 0
; MemoryBound: 0
; FloatMode: 240
; IeeeMode: 1
; LDSByteSize: 0 bytes/workgroup (compile time only)
; SGPRBlocks: 0
; VGPRBlocks: 0
; NumSGPRsForWavesPerEU: 2
; NumVGPRsForWavesPerEU: 2
; NamedBarCnt: 0
; Occupancy: 16
; WaveLimiterHint : 0
; COMPUTE_PGM_RSRC2:SCRATCH_EN: 0
; COMPUTE_PGM_RSRC2:USER_SGPR: 2
; COMPUTE_PGM_RSRC2:TRAP_HANDLER: 0
; COMPUTE_PGM_RSRC2:TGID_X_EN: 1
; COMPUTE_PGM_RSRC2:TGID_Y_EN: 0
; COMPUTE_PGM_RSRC2:TGID_Z_EN: 0
; COMPUTE_PGM_RSRC2:TIDIG_COMP_CNT: 0
	.section	.text._Z21device_test_warp_maskILj61EEvP10TestStatus,"axG",@progbits,_Z21device_test_warp_maskILj61EEvP10TestStatus,comdat
	.protected	_Z21device_test_warp_maskILj61EEvP10TestStatus ; -- Begin function _Z21device_test_warp_maskILj61EEvP10TestStatus
	.globl	_Z21device_test_warp_maskILj61EEvP10TestStatus
	.p2align	8
	.type	_Z21device_test_warp_maskILj61EEvP10TestStatus,@function
_Z21device_test_warp_maskILj61EEvP10TestStatus: ; @_Z21device_test_warp_maskILj61EEvP10TestStatus
; %bb.0:
	s_load_b64 s[0:1], s[0:1], 0x0
	v_mov_b32_e32 v1, 1
	s_wait_kmcnt 0x0
	global_store_b8 v0, v1, s[0:1]
	s_endpgm
	.section	.rodata,"a",@progbits
	.p2align	6, 0x0
	.amdhsa_kernel _Z21device_test_warp_maskILj61EEvP10TestStatus
		.amdhsa_group_segment_fixed_size 0
		.amdhsa_private_segment_fixed_size 0
		.amdhsa_kernarg_size 8
		.amdhsa_user_sgpr_count 2
		.amdhsa_user_sgpr_dispatch_ptr 0
		.amdhsa_user_sgpr_queue_ptr 0
		.amdhsa_user_sgpr_kernarg_segment_ptr 1
		.amdhsa_user_sgpr_dispatch_id 0
		.amdhsa_user_sgpr_kernarg_preload_length 0
		.amdhsa_user_sgpr_kernarg_preload_offset 0
		.amdhsa_user_sgpr_private_segment_size 0
		.amdhsa_wavefront_size32 1
		.amdhsa_uses_dynamic_stack 0
		.amdhsa_enable_private_segment 0
		.amdhsa_system_sgpr_workgroup_id_x 1
		.amdhsa_system_sgpr_workgroup_id_y 0
		.amdhsa_system_sgpr_workgroup_id_z 0
		.amdhsa_system_sgpr_workgroup_info 0
		.amdhsa_system_vgpr_workitem_id 0
		.amdhsa_next_free_vgpr 2
		.amdhsa_next_free_sgpr 2
		.amdhsa_named_barrier_count 0
		.amdhsa_reserve_vcc 0
		.amdhsa_float_round_mode_32 0
		.amdhsa_float_round_mode_16_64 0
		.amdhsa_float_denorm_mode_32 3
		.amdhsa_float_denorm_mode_16_64 3
		.amdhsa_fp16_overflow 0
		.amdhsa_memory_ordered 1
		.amdhsa_forward_progress 1
		.amdhsa_inst_pref_size 1
		.amdhsa_round_robin_scheduling 0
		.amdhsa_exception_fp_ieee_invalid_op 0
		.amdhsa_exception_fp_denorm_src 0
		.amdhsa_exception_fp_ieee_div_zero 0
		.amdhsa_exception_fp_ieee_overflow 0
		.amdhsa_exception_fp_ieee_underflow 0
		.amdhsa_exception_fp_ieee_inexact 0
		.amdhsa_exception_int_div_zero 0
	.end_amdhsa_kernel
	.section	.text._Z21device_test_warp_maskILj61EEvP10TestStatus,"axG",@progbits,_Z21device_test_warp_maskILj61EEvP10TestStatus,comdat
.Lfunc_end110:
	.size	_Z21device_test_warp_maskILj61EEvP10TestStatus, .Lfunc_end110-_Z21device_test_warp_maskILj61EEvP10TestStatus
                                        ; -- End function
	.set _Z21device_test_warp_maskILj61EEvP10TestStatus.num_vgpr, 2
	.set _Z21device_test_warp_maskILj61EEvP10TestStatus.num_agpr, 0
	.set _Z21device_test_warp_maskILj61EEvP10TestStatus.numbered_sgpr, 2
	.set _Z21device_test_warp_maskILj61EEvP10TestStatus.num_named_barrier, 0
	.set _Z21device_test_warp_maskILj61EEvP10TestStatus.private_seg_size, 0
	.set _Z21device_test_warp_maskILj61EEvP10TestStatus.uses_vcc, 0
	.set _Z21device_test_warp_maskILj61EEvP10TestStatus.uses_flat_scratch, 0
	.set _Z21device_test_warp_maskILj61EEvP10TestStatus.has_dyn_sized_stack, 0
	.set _Z21device_test_warp_maskILj61EEvP10TestStatus.has_recursion, 0
	.set _Z21device_test_warp_maskILj61EEvP10TestStatus.has_indirect_call, 0
	.section	.AMDGPU.csdata,"",@progbits
; Kernel info:
; codeLenInByte = 32
; TotalNumSgprs: 2
; NumVgprs: 2
; ScratchSize: 0
; MemoryBound: 0
; FloatMode: 240
; IeeeMode: 1
; LDSByteSize: 0 bytes/workgroup (compile time only)
; SGPRBlocks: 0
; VGPRBlocks: 0
; NumSGPRsForWavesPerEU: 2
; NumVGPRsForWavesPerEU: 2
; NamedBarCnt: 0
; Occupancy: 16
; WaveLimiterHint : 0
; COMPUTE_PGM_RSRC2:SCRATCH_EN: 0
; COMPUTE_PGM_RSRC2:USER_SGPR: 2
; COMPUTE_PGM_RSRC2:TRAP_HANDLER: 0
; COMPUTE_PGM_RSRC2:TGID_X_EN: 1
; COMPUTE_PGM_RSRC2:TGID_Y_EN: 0
; COMPUTE_PGM_RSRC2:TGID_Z_EN: 0
; COMPUTE_PGM_RSRC2:TIDIG_COMP_CNT: 0
	.section	.text._Z21device_test_warp_maskILj62EEvP10TestStatus,"axG",@progbits,_Z21device_test_warp_maskILj62EEvP10TestStatus,comdat
	.protected	_Z21device_test_warp_maskILj62EEvP10TestStatus ; -- Begin function _Z21device_test_warp_maskILj62EEvP10TestStatus
	.globl	_Z21device_test_warp_maskILj62EEvP10TestStatus
	.p2align	8
	.type	_Z21device_test_warp_maskILj62EEvP10TestStatus,@function
_Z21device_test_warp_maskILj62EEvP10TestStatus: ; @_Z21device_test_warp_maskILj62EEvP10TestStatus
; %bb.0:
	s_load_b64 s[0:1], s[0:1], 0x0
	v_mov_b32_e32 v1, 1
	s_wait_kmcnt 0x0
	global_store_b8 v0, v1, s[0:1]
	s_endpgm
	.section	.rodata,"a",@progbits
	.p2align	6, 0x0
	.amdhsa_kernel _Z21device_test_warp_maskILj62EEvP10TestStatus
		.amdhsa_group_segment_fixed_size 0
		.amdhsa_private_segment_fixed_size 0
		.amdhsa_kernarg_size 8
		.amdhsa_user_sgpr_count 2
		.amdhsa_user_sgpr_dispatch_ptr 0
		.amdhsa_user_sgpr_queue_ptr 0
		.amdhsa_user_sgpr_kernarg_segment_ptr 1
		.amdhsa_user_sgpr_dispatch_id 0
		.amdhsa_user_sgpr_kernarg_preload_length 0
		.amdhsa_user_sgpr_kernarg_preload_offset 0
		.amdhsa_user_sgpr_private_segment_size 0
		.amdhsa_wavefront_size32 1
		.amdhsa_uses_dynamic_stack 0
		.amdhsa_enable_private_segment 0
		.amdhsa_system_sgpr_workgroup_id_x 1
		.amdhsa_system_sgpr_workgroup_id_y 0
		.amdhsa_system_sgpr_workgroup_id_z 0
		.amdhsa_system_sgpr_workgroup_info 0
		.amdhsa_system_vgpr_workitem_id 0
		.amdhsa_next_free_vgpr 2
		.amdhsa_next_free_sgpr 2
		.amdhsa_named_barrier_count 0
		.amdhsa_reserve_vcc 0
		.amdhsa_float_round_mode_32 0
		.amdhsa_float_round_mode_16_64 0
		.amdhsa_float_denorm_mode_32 3
		.amdhsa_float_denorm_mode_16_64 3
		.amdhsa_fp16_overflow 0
		.amdhsa_memory_ordered 1
		.amdhsa_forward_progress 1
		.amdhsa_inst_pref_size 1
		.amdhsa_round_robin_scheduling 0
		.amdhsa_exception_fp_ieee_invalid_op 0
		.amdhsa_exception_fp_denorm_src 0
		.amdhsa_exception_fp_ieee_div_zero 0
		.amdhsa_exception_fp_ieee_overflow 0
		.amdhsa_exception_fp_ieee_underflow 0
		.amdhsa_exception_fp_ieee_inexact 0
		.amdhsa_exception_int_div_zero 0
	.end_amdhsa_kernel
	.section	.text._Z21device_test_warp_maskILj62EEvP10TestStatus,"axG",@progbits,_Z21device_test_warp_maskILj62EEvP10TestStatus,comdat
.Lfunc_end111:
	.size	_Z21device_test_warp_maskILj62EEvP10TestStatus, .Lfunc_end111-_Z21device_test_warp_maskILj62EEvP10TestStatus
                                        ; -- End function
	.set _Z21device_test_warp_maskILj62EEvP10TestStatus.num_vgpr, 2
	.set _Z21device_test_warp_maskILj62EEvP10TestStatus.num_agpr, 0
	.set _Z21device_test_warp_maskILj62EEvP10TestStatus.numbered_sgpr, 2
	.set _Z21device_test_warp_maskILj62EEvP10TestStatus.num_named_barrier, 0
	.set _Z21device_test_warp_maskILj62EEvP10TestStatus.private_seg_size, 0
	.set _Z21device_test_warp_maskILj62EEvP10TestStatus.uses_vcc, 0
	.set _Z21device_test_warp_maskILj62EEvP10TestStatus.uses_flat_scratch, 0
	.set _Z21device_test_warp_maskILj62EEvP10TestStatus.has_dyn_sized_stack, 0
	.set _Z21device_test_warp_maskILj62EEvP10TestStatus.has_recursion, 0
	.set _Z21device_test_warp_maskILj62EEvP10TestStatus.has_indirect_call, 0
	.section	.AMDGPU.csdata,"",@progbits
; Kernel info:
; codeLenInByte = 32
; TotalNumSgprs: 2
; NumVgprs: 2
; ScratchSize: 0
; MemoryBound: 0
; FloatMode: 240
; IeeeMode: 1
; LDSByteSize: 0 bytes/workgroup (compile time only)
; SGPRBlocks: 0
; VGPRBlocks: 0
; NumSGPRsForWavesPerEU: 2
; NumVGPRsForWavesPerEU: 2
; NamedBarCnt: 0
; Occupancy: 16
; WaveLimiterHint : 0
; COMPUTE_PGM_RSRC2:SCRATCH_EN: 0
; COMPUTE_PGM_RSRC2:USER_SGPR: 2
; COMPUTE_PGM_RSRC2:TRAP_HANDLER: 0
; COMPUTE_PGM_RSRC2:TGID_X_EN: 1
; COMPUTE_PGM_RSRC2:TGID_Y_EN: 0
; COMPUTE_PGM_RSRC2:TGID_Z_EN: 0
; COMPUTE_PGM_RSRC2:TIDIG_COMP_CNT: 0
	.section	.text._Z21device_test_warp_maskILj63EEvP10TestStatus,"axG",@progbits,_Z21device_test_warp_maskILj63EEvP10TestStatus,comdat
	.protected	_Z21device_test_warp_maskILj63EEvP10TestStatus ; -- Begin function _Z21device_test_warp_maskILj63EEvP10TestStatus
	.globl	_Z21device_test_warp_maskILj63EEvP10TestStatus
	.p2align	8
	.type	_Z21device_test_warp_maskILj63EEvP10TestStatus,@function
_Z21device_test_warp_maskILj63EEvP10TestStatus: ; @_Z21device_test_warp_maskILj63EEvP10TestStatus
; %bb.0:
	s_load_b64 s[0:1], s[0:1], 0x0
	v_mov_b32_e32 v1, 1
	s_wait_kmcnt 0x0
	global_store_b8 v0, v1, s[0:1]
	s_endpgm
	.section	.rodata,"a",@progbits
	.p2align	6, 0x0
	.amdhsa_kernel _Z21device_test_warp_maskILj63EEvP10TestStatus
		.amdhsa_group_segment_fixed_size 0
		.amdhsa_private_segment_fixed_size 0
		.amdhsa_kernarg_size 8
		.amdhsa_user_sgpr_count 2
		.amdhsa_user_sgpr_dispatch_ptr 0
		.amdhsa_user_sgpr_queue_ptr 0
		.amdhsa_user_sgpr_kernarg_segment_ptr 1
		.amdhsa_user_sgpr_dispatch_id 0
		.amdhsa_user_sgpr_kernarg_preload_length 0
		.amdhsa_user_sgpr_kernarg_preload_offset 0
		.amdhsa_user_sgpr_private_segment_size 0
		.amdhsa_wavefront_size32 1
		.amdhsa_uses_dynamic_stack 0
		.amdhsa_enable_private_segment 0
		.amdhsa_system_sgpr_workgroup_id_x 1
		.amdhsa_system_sgpr_workgroup_id_y 0
		.amdhsa_system_sgpr_workgroup_id_z 0
		.amdhsa_system_sgpr_workgroup_info 0
		.amdhsa_system_vgpr_workitem_id 0
		.amdhsa_next_free_vgpr 2
		.amdhsa_next_free_sgpr 2
		.amdhsa_named_barrier_count 0
		.amdhsa_reserve_vcc 0
		.amdhsa_float_round_mode_32 0
		.amdhsa_float_round_mode_16_64 0
		.amdhsa_float_denorm_mode_32 3
		.amdhsa_float_denorm_mode_16_64 3
		.amdhsa_fp16_overflow 0
		.amdhsa_memory_ordered 1
		.amdhsa_forward_progress 1
		.amdhsa_inst_pref_size 1
		.amdhsa_round_robin_scheduling 0
		.amdhsa_exception_fp_ieee_invalid_op 0
		.amdhsa_exception_fp_denorm_src 0
		.amdhsa_exception_fp_ieee_div_zero 0
		.amdhsa_exception_fp_ieee_overflow 0
		.amdhsa_exception_fp_ieee_underflow 0
		.amdhsa_exception_fp_ieee_inexact 0
		.amdhsa_exception_int_div_zero 0
	.end_amdhsa_kernel
	.section	.text._Z21device_test_warp_maskILj63EEvP10TestStatus,"axG",@progbits,_Z21device_test_warp_maskILj63EEvP10TestStatus,comdat
.Lfunc_end112:
	.size	_Z21device_test_warp_maskILj63EEvP10TestStatus, .Lfunc_end112-_Z21device_test_warp_maskILj63EEvP10TestStatus
                                        ; -- End function
	.set _Z21device_test_warp_maskILj63EEvP10TestStatus.num_vgpr, 2
	.set _Z21device_test_warp_maskILj63EEvP10TestStatus.num_agpr, 0
	.set _Z21device_test_warp_maskILj63EEvP10TestStatus.numbered_sgpr, 2
	.set _Z21device_test_warp_maskILj63EEvP10TestStatus.num_named_barrier, 0
	.set _Z21device_test_warp_maskILj63EEvP10TestStatus.private_seg_size, 0
	.set _Z21device_test_warp_maskILj63EEvP10TestStatus.uses_vcc, 0
	.set _Z21device_test_warp_maskILj63EEvP10TestStatus.uses_flat_scratch, 0
	.set _Z21device_test_warp_maskILj63EEvP10TestStatus.has_dyn_sized_stack, 0
	.set _Z21device_test_warp_maskILj63EEvP10TestStatus.has_recursion, 0
	.set _Z21device_test_warp_maskILj63EEvP10TestStatus.has_indirect_call, 0
	.section	.AMDGPU.csdata,"",@progbits
; Kernel info:
; codeLenInByte = 32
; TotalNumSgprs: 2
; NumVgprs: 2
; ScratchSize: 0
; MemoryBound: 0
; FloatMode: 240
; IeeeMode: 1
; LDSByteSize: 0 bytes/workgroup (compile time only)
; SGPRBlocks: 0
; VGPRBlocks: 0
; NumSGPRsForWavesPerEU: 2
; NumVGPRsForWavesPerEU: 2
; NamedBarCnt: 0
; Occupancy: 16
; WaveLimiterHint : 0
; COMPUTE_PGM_RSRC2:SCRATCH_EN: 0
; COMPUTE_PGM_RSRC2:USER_SGPR: 2
; COMPUTE_PGM_RSRC2:TRAP_HANDLER: 0
; COMPUTE_PGM_RSRC2:TGID_X_EN: 1
; COMPUTE_PGM_RSRC2:TGID_Y_EN: 0
; COMPUTE_PGM_RSRC2:TGID_Z_EN: 0
; COMPUTE_PGM_RSRC2:TIDIG_COMP_CNT: 0
	.section	.text._Z21device_test_warp_maskILj64EEvP10TestStatus,"axG",@progbits,_Z21device_test_warp_maskILj64EEvP10TestStatus,comdat
	.protected	_Z21device_test_warp_maskILj64EEvP10TestStatus ; -- Begin function _Z21device_test_warp_maskILj64EEvP10TestStatus
	.globl	_Z21device_test_warp_maskILj64EEvP10TestStatus
	.p2align	8
	.type	_Z21device_test_warp_maskILj64EEvP10TestStatus,@function
_Z21device_test_warp_maskILj64EEvP10TestStatus: ; @_Z21device_test_warp_maskILj64EEvP10TestStatus
; %bb.0:
	s_load_b64 s[0:1], s[0:1], 0x0
	v_mbcnt_lo_u32_b32 v1, -1, 0
	s_delay_alu instid0(VALU_DEP_1)
	v_cmp_gt_u32_e32 vcc_lo, 64, v1
	v_cndmask_b32_e64 v1, 0, 1, vcc_lo
	s_wait_kmcnt 0x0
	global_store_b8 v0, v1, s[0:1]
	s_endpgm
	.section	.rodata,"a",@progbits
	.p2align	6, 0x0
	.amdhsa_kernel _Z21device_test_warp_maskILj64EEvP10TestStatus
		.amdhsa_group_segment_fixed_size 0
		.amdhsa_private_segment_fixed_size 0
		.amdhsa_kernarg_size 8
		.amdhsa_user_sgpr_count 2
		.amdhsa_user_sgpr_dispatch_ptr 0
		.amdhsa_user_sgpr_queue_ptr 0
		.amdhsa_user_sgpr_kernarg_segment_ptr 1
		.amdhsa_user_sgpr_dispatch_id 0
		.amdhsa_user_sgpr_kernarg_preload_length 0
		.amdhsa_user_sgpr_kernarg_preload_offset 0
		.amdhsa_user_sgpr_private_segment_size 0
		.amdhsa_wavefront_size32 1
		.amdhsa_uses_dynamic_stack 0
		.amdhsa_enable_private_segment 0
		.amdhsa_system_sgpr_workgroup_id_x 1
		.amdhsa_system_sgpr_workgroup_id_y 0
		.amdhsa_system_sgpr_workgroup_id_z 0
		.amdhsa_system_sgpr_workgroup_info 0
		.amdhsa_system_vgpr_workitem_id 0
		.amdhsa_next_free_vgpr 2
		.amdhsa_next_free_sgpr 2
		.amdhsa_named_barrier_count 0
		.amdhsa_reserve_vcc 1
		.amdhsa_float_round_mode_32 0
		.amdhsa_float_round_mode_16_64 0
		.amdhsa_float_denorm_mode_32 3
		.amdhsa_float_denorm_mode_16_64 3
		.amdhsa_fp16_overflow 0
		.amdhsa_memory_ordered 1
		.amdhsa_forward_progress 1
		.amdhsa_inst_pref_size 1
		.amdhsa_round_robin_scheduling 0
		.amdhsa_exception_fp_ieee_invalid_op 0
		.amdhsa_exception_fp_denorm_src 0
		.amdhsa_exception_fp_ieee_div_zero 0
		.amdhsa_exception_fp_ieee_overflow 0
		.amdhsa_exception_fp_ieee_underflow 0
		.amdhsa_exception_fp_ieee_inexact 0
		.amdhsa_exception_int_div_zero 0
	.end_amdhsa_kernel
	.section	.text._Z21device_test_warp_maskILj64EEvP10TestStatus,"axG",@progbits,_Z21device_test_warp_maskILj64EEvP10TestStatus,comdat
.Lfunc_end113:
	.size	_Z21device_test_warp_maskILj64EEvP10TestStatus, .Lfunc_end113-_Z21device_test_warp_maskILj64EEvP10TestStatus
                                        ; -- End function
	.set _Z21device_test_warp_maskILj64EEvP10TestStatus.num_vgpr, 2
	.set _Z21device_test_warp_maskILj64EEvP10TestStatus.num_agpr, 0
	.set _Z21device_test_warp_maskILj64EEvP10TestStatus.numbered_sgpr, 2
	.set _Z21device_test_warp_maskILj64EEvP10TestStatus.num_named_barrier, 0
	.set _Z21device_test_warp_maskILj64EEvP10TestStatus.private_seg_size, 0
	.set _Z21device_test_warp_maskILj64EEvP10TestStatus.uses_vcc, 1
	.set _Z21device_test_warp_maskILj64EEvP10TestStatus.uses_flat_scratch, 0
	.set _Z21device_test_warp_maskILj64EEvP10TestStatus.has_dyn_sized_stack, 0
	.set _Z21device_test_warp_maskILj64EEvP10TestStatus.has_recursion, 0
	.set _Z21device_test_warp_maskILj64EEvP10TestStatus.has_indirect_call, 0
	.section	.AMDGPU.csdata,"",@progbits
; Kernel info:
; codeLenInByte = 52
; TotalNumSgprs: 4
; NumVgprs: 2
; ScratchSize: 0
; MemoryBound: 0
; FloatMode: 240
; IeeeMode: 1
; LDSByteSize: 0 bytes/workgroup (compile time only)
; SGPRBlocks: 0
; VGPRBlocks: 0
; NumSGPRsForWavesPerEU: 4
; NumVGPRsForWavesPerEU: 2
; NamedBarCnt: 0
; Occupancy: 16
; WaveLimiterHint : 0
; COMPUTE_PGM_RSRC2:SCRATCH_EN: 0
; COMPUTE_PGM_RSRC2:USER_SGPR: 2
; COMPUTE_PGM_RSRC2:TRAP_HANDLER: 0
; COMPUTE_PGM_RSRC2:TGID_X_EN: 1
; COMPUTE_PGM_RSRC2:TGID_Y_EN: 0
; COMPUTE_PGM_RSRC2:TGID_Z_EN: 0
; COMPUTE_PGM_RSRC2:TIDIG_COMP_CNT: 0
	.text
	.p2alignl 7, 3214868480
	.fill 96, 4, 3214868480
	.section	.AMDGPU.gpr_maximums,"",@progbits
	.set amdgpu.max_num_vgpr, 0
	.set amdgpu.max_num_agpr, 0
	.set amdgpu.max_num_sgpr, 0
	.text
	.type	__hip_cuid_37c30a1edfb69156,@object ; @__hip_cuid_37c30a1edfb69156
	.section	.bss,"aw",@nobits
	.globl	__hip_cuid_37c30a1edfb69156
__hip_cuid_37c30a1edfb69156:
	.byte	0                               ; 0x0
	.size	__hip_cuid_37c30a1edfb69156, 1

	.ident	"AMD clang version 22.0.0git (https://github.com/RadeonOpenCompute/llvm-project roc-7.2.4 26084 f58b06dce1f9c15707c5f808fd002e18c2accf7e)"
	.section	".note.GNU-stack","",@progbits
	.addrsig
	.addrsig_sym __hip_cuid_37c30a1edfb69156
	.amdgpu_metadata
---
amdhsa.kernels:
  - .args:
      - .address_space:  global
        .offset:         0
        .size:           8
        .value_kind:     global_buffer
      - .offset:         8
        .size:           4
        .value_kind:     hidden_block_count_x
      - .offset:         12
        .size:           4
        .value_kind:     hidden_block_count_y
      - .offset:         16
        .size:           4
        .value_kind:     hidden_block_count_z
      - .offset:         20
        .size:           2
        .value_kind:     hidden_group_size_x
      - .offset:         22
        .size:           2
        .value_kind:     hidden_group_size_y
      - .offset:         24
        .size:           2
        .value_kind:     hidden_group_size_z
      - .offset:         26
        .size:           2
        .value_kind:     hidden_remainder_x
      - .offset:         28
        .size:           2
        .value_kind:     hidden_remainder_y
      - .offset:         30
        .size:           2
        .value_kind:     hidden_remainder_z
      - .offset:         48
        .size:           8
        .value_kind:     hidden_global_offset_x
      - .offset:         56
        .size:           8
        .value_kind:     hidden_global_offset_y
      - .offset:         64
        .size:           8
        .value_kind:     hidden_global_offset_z
      - .offset:         72
        .size:           2
        .value_kind:     hidden_grid_dims
    .group_segment_fixed_size: 0
    .kernarg_segment_align: 8
    .kernarg_segment_size: 264
    .language:       OpenCL C
    .language_version:
      - 2
      - 0
    .max_flat_workgroup_size: 1024
    .name:           _Z14warp_id_kernelPj
    .private_segment_fixed_size: 0
    .sgpr_count:     6
    .sgpr_spill_count: 0
    .symbol:         _Z14warp_id_kernelPj.kd
    .uniform_work_group_size: 1
    .uses_dynamic_stack: false
    .vgpr_count:     3
    .vgpr_spill_count: 0
    .wavefront_size: 32
  - .args:
      - .address_space:  global
        .offset:         0
        .size:           8
        .value_kind:     global_buffer
      - .offset:         8
        .size:           4
        .value_kind:     by_value
      - .offset:         16
        .size:           4
        .value_kind:     hidden_block_count_x
      - .offset:         20
        .size:           4
        .value_kind:     hidden_block_count_y
      - .offset:         24
        .size:           4
        .value_kind:     hidden_block_count_z
      - .offset:         28
        .size:           2
        .value_kind:     hidden_group_size_x
      - .offset:         30
        .size:           2
        .value_kind:     hidden_group_size_y
      - .offset:         32
        .size:           2
        .value_kind:     hidden_group_size_z
      - .offset:         34
        .size:           2
        .value_kind:     hidden_remainder_x
      - .offset:         36
        .size:           2
        .value_kind:     hidden_remainder_y
      - .offset:         38
        .size:           2
        .value_kind:     hidden_remainder_z
      - .offset:         56
        .size:           8
        .value_kind:     hidden_global_offset_x
      - .offset:         64
        .size:           8
        .value_kind:     hidden_global_offset_y
      - .offset:         72
        .size:           8
        .value_kind:     hidden_global_offset_z
      - .offset:         80
        .size:           2
        .value_kind:     hidden_grid_dims
    .group_segment_fixed_size: 0
    .kernarg_segment_align: 8
    .kernarg_segment_size: 272
    .language:       OpenCL C
    .language_version:
      - 2
      - 0
    .max_flat_workgroup_size: 1024
    .name:           _Z17shuffle_up_kernelILj64E12hip_bfloat16EvPT0_j
    .private_segment_fixed_size: 0
    .sgpr_count:     9
    .sgpr_spill_count: 0
    .symbol:         _Z17shuffle_up_kernelILj64E12hip_bfloat16EvPT0_j.kd
    .uniform_work_group_size: 1
    .uses_dynamic_stack: false
    .vgpr_count:     4
    .vgpr_spill_count: 0
    .wavefront_size: 32
  - .args:
      - .address_space:  global
        .offset:         0
        .size:           8
        .value_kind:     global_buffer
      - .offset:         8
        .size:           4
        .value_kind:     by_value
      - .offset:         16
        .size:           4
        .value_kind:     hidden_block_count_x
      - .offset:         20
        .size:           4
        .value_kind:     hidden_block_count_y
      - .offset:         24
        .size:           4
        .value_kind:     hidden_block_count_z
      - .offset:         28
        .size:           2
        .value_kind:     hidden_group_size_x
      - .offset:         30
        .size:           2
        .value_kind:     hidden_group_size_y
      - .offset:         32
        .size:           2
        .value_kind:     hidden_group_size_z
      - .offset:         34
        .size:           2
        .value_kind:     hidden_remainder_x
      - .offset:         36
        .size:           2
        .value_kind:     hidden_remainder_y
      - .offset:         38
        .size:           2
        .value_kind:     hidden_remainder_z
      - .offset:         56
        .size:           8
        .value_kind:     hidden_global_offset_x
      - .offset:         64
        .size:           8
        .value_kind:     hidden_global_offset_y
      - .offset:         72
        .size:           8
        .value_kind:     hidden_global_offset_z
      - .offset:         80
        .size:           2
        .value_kind:     hidden_grid_dims
    .group_segment_fixed_size: 0
    .kernarg_segment_align: 8
    .kernarg_segment_size: 272
    .language:       OpenCL C
    .language_version:
      - 2
      - 0
    .max_flat_workgroup_size: 1024
    .name:           _Z17shuffle_up_kernelILj64E6__halfEvPT0_j
    .private_segment_fixed_size: 0
    .sgpr_count:     9
    .sgpr_spill_count: 0
    .symbol:         _Z17shuffle_up_kernelILj64E6__halfEvPT0_j.kd
    .uniform_work_group_size: 1
    .uses_dynamic_stack: false
    .vgpr_count:     4
    .vgpr_spill_count: 0
    .wavefront_size: 32
  - .args:
      - .address_space:  global
        .offset:         0
        .size:           8
        .value_kind:     global_buffer
      - .offset:         8
        .size:           4
        .value_kind:     by_value
      - .offset:         16
        .size:           4
        .value_kind:     hidden_block_count_x
      - .offset:         20
        .size:           4
        .value_kind:     hidden_block_count_y
      - .offset:         24
        .size:           4
        .value_kind:     hidden_block_count_z
      - .offset:         28
        .size:           2
        .value_kind:     hidden_group_size_x
      - .offset:         30
        .size:           2
        .value_kind:     hidden_group_size_y
      - .offset:         32
        .size:           2
        .value_kind:     hidden_group_size_z
      - .offset:         34
        .size:           2
        .value_kind:     hidden_remainder_x
      - .offset:         36
        .size:           2
        .value_kind:     hidden_remainder_y
      - .offset:         38
        .size:           2
        .value_kind:     hidden_remainder_z
      - .offset:         56
        .size:           8
        .value_kind:     hidden_global_offset_x
      - .offset:         64
        .size:           8
        .value_kind:     hidden_global_offset_y
      - .offset:         72
        .size:           8
        .value_kind:     hidden_global_offset_z
      - .offset:         80
        .size:           2
        .value_kind:     hidden_grid_dims
    .group_segment_fixed_size: 0
    .kernarg_segment_align: 8
    .kernarg_segment_size: 272
    .language:       OpenCL C
    .language_version:
      - 2
      - 0
    .max_flat_workgroup_size: 1024
    .name:           _Z17shuffle_up_kernelILj64EhEvPT0_j
    .private_segment_fixed_size: 0
    .sgpr_count:     9
    .sgpr_spill_count: 0
    .symbol:         _Z17shuffle_up_kernelILj64EhEvPT0_j.kd
    .uniform_work_group_size: 1
    .uses_dynamic_stack: false
    .vgpr_count:     4
    .vgpr_spill_count: 0
    .wavefront_size: 32
  - .args:
      - .address_space:  global
        .offset:         0
        .size:           8
        .value_kind:     global_buffer
      - .offset:         8
        .size:           4
        .value_kind:     by_value
      - .offset:         16
        .size:           4
        .value_kind:     hidden_block_count_x
      - .offset:         20
        .size:           4
        .value_kind:     hidden_block_count_y
      - .offset:         24
        .size:           4
        .value_kind:     hidden_block_count_z
      - .offset:         28
        .size:           2
        .value_kind:     hidden_group_size_x
      - .offset:         30
        .size:           2
        .value_kind:     hidden_group_size_y
      - .offset:         32
        .size:           2
        .value_kind:     hidden_group_size_z
      - .offset:         34
        .size:           2
        .value_kind:     hidden_remainder_x
      - .offset:         36
        .size:           2
        .value_kind:     hidden_remainder_y
      - .offset:         38
        .size:           2
        .value_kind:     hidden_remainder_z
      - .offset:         56
        .size:           8
        .value_kind:     hidden_global_offset_x
      - .offset:         64
        .size:           8
        .value_kind:     hidden_global_offset_y
      - .offset:         72
        .size:           8
        .value_kind:     hidden_global_offset_z
      - .offset:         80
        .size:           2
        .value_kind:     hidden_grid_dims
    .group_segment_fixed_size: 0
    .kernarg_segment_align: 8
    .kernarg_segment_size: 272
    .language:       OpenCL C
    .language_version:
      - 2
      - 0
    .max_flat_workgroup_size: 1024
    .name:           _Z17shuffle_up_kernelILj64EdEvPT0_j
    .private_segment_fixed_size: 0
    .sgpr_count:     9
    .sgpr_spill_count: 0
    .symbol:         _Z17shuffle_up_kernelILj64EdEvPT0_j.kd
    .uniform_work_group_size: 1
    .uses_dynamic_stack: false
    .vgpr_count:     5
    .vgpr_spill_count: 0
    .wavefront_size: 32
  - .args:
      - .address_space:  global
        .offset:         0
        .size:           8
        .value_kind:     global_buffer
      - .offset:         8
        .size:           4
        .value_kind:     by_value
      - .offset:         16
        .size:           4
        .value_kind:     hidden_block_count_x
      - .offset:         20
        .size:           4
        .value_kind:     hidden_block_count_y
      - .offset:         24
        .size:           4
        .value_kind:     hidden_block_count_z
      - .offset:         28
        .size:           2
        .value_kind:     hidden_group_size_x
      - .offset:         30
        .size:           2
        .value_kind:     hidden_group_size_y
      - .offset:         32
        .size:           2
        .value_kind:     hidden_group_size_z
      - .offset:         34
        .size:           2
        .value_kind:     hidden_remainder_x
      - .offset:         36
        .size:           2
        .value_kind:     hidden_remainder_y
      - .offset:         38
        .size:           2
        .value_kind:     hidden_remainder_z
      - .offset:         56
        .size:           8
        .value_kind:     hidden_global_offset_x
      - .offset:         64
        .size:           8
        .value_kind:     hidden_global_offset_y
      - .offset:         72
        .size:           8
        .value_kind:     hidden_global_offset_z
      - .offset:         80
        .size:           2
        .value_kind:     hidden_grid_dims
    .group_segment_fixed_size: 0
    .kernarg_segment_align: 8
    .kernarg_segment_size: 272
    .language:       OpenCL C
    .language_version:
      - 2
      - 0
    .max_flat_workgroup_size: 1024
    .name:           _Z17shuffle_up_kernelILj64EfEvPT0_j
    .private_segment_fixed_size: 0
    .sgpr_count:     9
    .sgpr_spill_count: 0
    .symbol:         _Z17shuffle_up_kernelILj64EfEvPT0_j.kd
    .uniform_work_group_size: 1
    .uses_dynamic_stack: false
    .vgpr_count:     4
    .vgpr_spill_count: 0
    .wavefront_size: 32
  - .args:
      - .address_space:  global
        .offset:         0
        .size:           8
        .value_kind:     global_buffer
      - .offset:         8
        .size:           4
        .value_kind:     by_value
      - .offset:         16
        .size:           4
        .value_kind:     hidden_block_count_x
      - .offset:         20
        .size:           4
        .value_kind:     hidden_block_count_y
      - .offset:         24
        .size:           4
        .value_kind:     hidden_block_count_z
      - .offset:         28
        .size:           2
        .value_kind:     hidden_group_size_x
      - .offset:         30
        .size:           2
        .value_kind:     hidden_group_size_y
      - .offset:         32
        .size:           2
        .value_kind:     hidden_group_size_z
      - .offset:         34
        .size:           2
        .value_kind:     hidden_remainder_x
      - .offset:         36
        .size:           2
        .value_kind:     hidden_remainder_y
      - .offset:         38
        .size:           2
        .value_kind:     hidden_remainder_z
      - .offset:         56
        .size:           8
        .value_kind:     hidden_global_offset_x
      - .offset:         64
        .size:           8
        .value_kind:     hidden_global_offset_y
      - .offset:         72
        .size:           8
        .value_kind:     hidden_global_offset_z
      - .offset:         80
        .size:           2
        .value_kind:     hidden_grid_dims
    .group_segment_fixed_size: 0
    .kernarg_segment_align: 8
    .kernarg_segment_size: 272
    .language:       OpenCL C
    .language_version:
      - 2
      - 0
    .max_flat_workgroup_size: 1024
    .name:           _Z17shuffle_up_kernelILj32EhEvPT0_j
    .private_segment_fixed_size: 0
    .sgpr_count:     9
    .sgpr_spill_count: 0
    .symbol:         _Z17shuffle_up_kernelILj32EhEvPT0_j.kd
    .uniform_work_group_size: 1
    .uses_dynamic_stack: false
    .vgpr_count:     4
    .vgpr_spill_count: 0
    .wavefront_size: 32
  - .args:
      - .address_space:  global
        .offset:         0
        .size:           8
        .value_kind:     global_buffer
      - .offset:         8
        .size:           4
        .value_kind:     by_value
      - .offset:         16
        .size:           4
        .value_kind:     hidden_block_count_x
      - .offset:         20
        .size:           4
        .value_kind:     hidden_block_count_y
      - .offset:         24
        .size:           4
        .value_kind:     hidden_block_count_z
      - .offset:         28
        .size:           2
        .value_kind:     hidden_group_size_x
      - .offset:         30
        .size:           2
        .value_kind:     hidden_group_size_y
      - .offset:         32
        .size:           2
        .value_kind:     hidden_group_size_z
      - .offset:         34
        .size:           2
        .value_kind:     hidden_remainder_x
      - .offset:         36
        .size:           2
        .value_kind:     hidden_remainder_y
      - .offset:         38
        .size:           2
        .value_kind:     hidden_remainder_z
      - .offset:         56
        .size:           8
        .value_kind:     hidden_global_offset_x
      - .offset:         64
        .size:           8
        .value_kind:     hidden_global_offset_y
      - .offset:         72
        .size:           8
        .value_kind:     hidden_global_offset_z
      - .offset:         80
        .size:           2
        .value_kind:     hidden_grid_dims
    .group_segment_fixed_size: 0
    .kernarg_segment_align: 8
    .kernarg_segment_size: 272
    .language:       OpenCL C
    .language_version:
      - 2
      - 0
    .max_flat_workgroup_size: 1024
    .name:           _Z17shuffle_up_kernelILj32E12hip_bfloat16EvPT0_j
    .private_segment_fixed_size: 0
    .sgpr_count:     9
    .sgpr_spill_count: 0
    .symbol:         _Z17shuffle_up_kernelILj32E12hip_bfloat16EvPT0_j.kd
    .uniform_work_group_size: 1
    .uses_dynamic_stack: false
    .vgpr_count:     4
    .vgpr_spill_count: 0
    .wavefront_size: 32
  - .args:
      - .address_space:  global
        .offset:         0
        .size:           8
        .value_kind:     global_buffer
      - .offset:         8
        .size:           4
        .value_kind:     by_value
      - .offset:         16
        .size:           4
        .value_kind:     hidden_block_count_x
      - .offset:         20
        .size:           4
        .value_kind:     hidden_block_count_y
      - .offset:         24
        .size:           4
        .value_kind:     hidden_block_count_z
      - .offset:         28
        .size:           2
        .value_kind:     hidden_group_size_x
      - .offset:         30
        .size:           2
        .value_kind:     hidden_group_size_y
      - .offset:         32
        .size:           2
        .value_kind:     hidden_group_size_z
      - .offset:         34
        .size:           2
        .value_kind:     hidden_remainder_x
      - .offset:         36
        .size:           2
        .value_kind:     hidden_remainder_y
      - .offset:         38
        .size:           2
        .value_kind:     hidden_remainder_z
      - .offset:         56
        .size:           8
        .value_kind:     hidden_global_offset_x
      - .offset:         64
        .size:           8
        .value_kind:     hidden_global_offset_y
      - .offset:         72
        .size:           8
        .value_kind:     hidden_global_offset_z
      - .offset:         80
        .size:           2
        .value_kind:     hidden_grid_dims
    .group_segment_fixed_size: 0
    .kernarg_segment_align: 8
    .kernarg_segment_size: 272
    .language:       OpenCL C
    .language_version:
      - 2
      - 0
    .max_flat_workgroup_size: 1024
    .name:           _Z17shuffle_up_kernelILj32E6__halfEvPT0_j
    .private_segment_fixed_size: 0
    .sgpr_count:     9
    .sgpr_spill_count: 0
    .symbol:         _Z17shuffle_up_kernelILj32E6__halfEvPT0_j.kd
    .uniform_work_group_size: 1
    .uses_dynamic_stack: false
    .vgpr_count:     4
    .vgpr_spill_count: 0
    .wavefront_size: 32
  - .args:
      - .address_space:  global
        .offset:         0
        .size:           8
        .value_kind:     global_buffer
      - .offset:         8
        .size:           4
        .value_kind:     by_value
      - .offset:         16
        .size:           4
        .value_kind:     hidden_block_count_x
      - .offset:         20
        .size:           4
        .value_kind:     hidden_block_count_y
      - .offset:         24
        .size:           4
        .value_kind:     hidden_block_count_z
      - .offset:         28
        .size:           2
        .value_kind:     hidden_group_size_x
      - .offset:         30
        .size:           2
        .value_kind:     hidden_group_size_y
      - .offset:         32
        .size:           2
        .value_kind:     hidden_group_size_z
      - .offset:         34
        .size:           2
        .value_kind:     hidden_remainder_x
      - .offset:         36
        .size:           2
        .value_kind:     hidden_remainder_y
      - .offset:         38
        .size:           2
        .value_kind:     hidden_remainder_z
      - .offset:         56
        .size:           8
        .value_kind:     hidden_global_offset_x
      - .offset:         64
        .size:           8
        .value_kind:     hidden_global_offset_y
      - .offset:         72
        .size:           8
        .value_kind:     hidden_global_offset_z
      - .offset:         80
        .size:           2
        .value_kind:     hidden_grid_dims
    .group_segment_fixed_size: 0
    .kernarg_segment_align: 8
    .kernarg_segment_size: 272
    .language:       OpenCL C
    .language_version:
      - 2
      - 0
    .max_flat_workgroup_size: 1024
    .name:           _Z17shuffle_up_kernelILj32EdEvPT0_j
    .private_segment_fixed_size: 0
    .sgpr_count:     9
    .sgpr_spill_count: 0
    .symbol:         _Z17shuffle_up_kernelILj32EdEvPT0_j.kd
    .uniform_work_group_size: 1
    .uses_dynamic_stack: false
    .vgpr_count:     5
    .vgpr_spill_count: 0
    .wavefront_size: 32
  - .args:
      - .address_space:  global
        .offset:         0
        .size:           8
        .value_kind:     global_buffer
      - .offset:         8
        .size:           4
        .value_kind:     by_value
      - .offset:         16
        .size:           4
        .value_kind:     hidden_block_count_x
      - .offset:         20
        .size:           4
        .value_kind:     hidden_block_count_y
      - .offset:         24
        .size:           4
        .value_kind:     hidden_block_count_z
      - .offset:         28
        .size:           2
        .value_kind:     hidden_group_size_x
      - .offset:         30
        .size:           2
        .value_kind:     hidden_group_size_y
      - .offset:         32
        .size:           2
        .value_kind:     hidden_group_size_z
      - .offset:         34
        .size:           2
        .value_kind:     hidden_remainder_x
      - .offset:         36
        .size:           2
        .value_kind:     hidden_remainder_y
      - .offset:         38
        .size:           2
        .value_kind:     hidden_remainder_z
      - .offset:         56
        .size:           8
        .value_kind:     hidden_global_offset_x
      - .offset:         64
        .size:           8
        .value_kind:     hidden_global_offset_y
      - .offset:         72
        .size:           8
        .value_kind:     hidden_global_offset_z
      - .offset:         80
        .size:           2
        .value_kind:     hidden_grid_dims
    .group_segment_fixed_size: 0
    .kernarg_segment_align: 8
    .kernarg_segment_size: 272
    .language:       OpenCL C
    .language_version:
      - 2
      - 0
    .max_flat_workgroup_size: 1024
    .name:           _Z17shuffle_up_kernelILj32EfEvPT0_j
    .private_segment_fixed_size: 0
    .sgpr_count:     9
    .sgpr_spill_count: 0
    .symbol:         _Z17shuffle_up_kernelILj32EfEvPT0_j.kd
    .uniform_work_group_size: 1
    .uses_dynamic_stack: false
    .vgpr_count:     4
    .vgpr_spill_count: 0
    .wavefront_size: 32
  - .args:
      - .address_space:  global
        .offset:         0
        .size:           8
        .value_kind:     global_buffer
      - .offset:         8
        .size:           4
        .value_kind:     by_value
      - .offset:         16
        .size:           4
        .value_kind:     hidden_block_count_x
      - .offset:         20
        .size:           4
        .value_kind:     hidden_block_count_y
      - .offset:         24
        .size:           4
        .value_kind:     hidden_block_count_z
      - .offset:         28
        .size:           2
        .value_kind:     hidden_group_size_x
      - .offset:         30
        .size:           2
        .value_kind:     hidden_group_size_y
      - .offset:         32
        .size:           2
        .value_kind:     hidden_group_size_z
      - .offset:         34
        .size:           2
        .value_kind:     hidden_remainder_x
      - .offset:         36
        .size:           2
        .value_kind:     hidden_remainder_y
      - .offset:         38
        .size:           2
        .value_kind:     hidden_remainder_z
      - .offset:         56
        .size:           8
        .value_kind:     hidden_global_offset_x
      - .offset:         64
        .size:           8
        .value_kind:     hidden_global_offset_y
      - .offset:         72
        .size:           8
        .value_kind:     hidden_global_offset_z
      - .offset:         80
        .size:           2
        .value_kind:     hidden_grid_dims
    .group_segment_fixed_size: 0
    .kernarg_segment_align: 8
    .kernarg_segment_size: 272
    .language:       OpenCL C
    .language_version:
      - 2
      - 0
    .max_flat_workgroup_size: 1024
    .name:           _Z17shuffle_up_kernelILj2EiEvPT0_j
    .private_segment_fixed_size: 0
    .sgpr_count:     9
    .sgpr_spill_count: 0
    .symbol:         _Z17shuffle_up_kernelILj2EiEvPT0_j.kd
    .uniform_work_group_size: 1
    .uses_dynamic_stack: false
    .vgpr_count:     5
    .vgpr_spill_count: 0
    .wavefront_size: 32
  - .args:
      - .address_space:  global
        .offset:         0
        .size:           8
        .value_kind:     global_buffer
      - .offset:         8
        .size:           4
        .value_kind:     by_value
      - .offset:         16
        .size:           4
        .value_kind:     hidden_block_count_x
      - .offset:         20
        .size:           4
        .value_kind:     hidden_block_count_y
      - .offset:         24
        .size:           4
        .value_kind:     hidden_block_count_z
      - .offset:         28
        .size:           2
        .value_kind:     hidden_group_size_x
      - .offset:         30
        .size:           2
        .value_kind:     hidden_group_size_y
      - .offset:         32
        .size:           2
        .value_kind:     hidden_group_size_z
      - .offset:         34
        .size:           2
        .value_kind:     hidden_remainder_x
      - .offset:         36
        .size:           2
        .value_kind:     hidden_remainder_y
      - .offset:         38
        .size:           2
        .value_kind:     hidden_remainder_z
      - .offset:         56
        .size:           8
        .value_kind:     hidden_global_offset_x
      - .offset:         64
        .size:           8
        .value_kind:     hidden_global_offset_y
      - .offset:         72
        .size:           8
        .value_kind:     hidden_global_offset_z
      - .offset:         80
        .size:           2
        .value_kind:     hidden_grid_dims
    .group_segment_fixed_size: 0
    .kernarg_segment_align: 8
    .kernarg_segment_size: 272
    .language:       OpenCL C
    .language_version:
      - 2
      - 0
    .max_flat_workgroup_size: 1024
    .name:           _Z17shuffle_up_kernelILj4EiEvPT0_j
    .private_segment_fixed_size: 0
    .sgpr_count:     9
    .sgpr_spill_count: 0
    .symbol:         _Z17shuffle_up_kernelILj4EiEvPT0_j.kd
    .uniform_work_group_size: 1
    .uses_dynamic_stack: false
    .vgpr_count:     5
    .vgpr_spill_count: 0
    .wavefront_size: 32
  - .args:
      - .address_space:  global
        .offset:         0
        .size:           8
        .value_kind:     global_buffer
      - .offset:         8
        .size:           4
        .value_kind:     by_value
      - .offset:         16
        .size:           4
        .value_kind:     hidden_block_count_x
      - .offset:         20
        .size:           4
        .value_kind:     hidden_block_count_y
      - .offset:         24
        .size:           4
        .value_kind:     hidden_block_count_z
      - .offset:         28
        .size:           2
        .value_kind:     hidden_group_size_x
      - .offset:         30
        .size:           2
        .value_kind:     hidden_group_size_y
      - .offset:         32
        .size:           2
        .value_kind:     hidden_group_size_z
      - .offset:         34
        .size:           2
        .value_kind:     hidden_remainder_x
      - .offset:         36
        .size:           2
        .value_kind:     hidden_remainder_y
      - .offset:         38
        .size:           2
        .value_kind:     hidden_remainder_z
      - .offset:         56
        .size:           8
        .value_kind:     hidden_global_offset_x
      - .offset:         64
        .size:           8
        .value_kind:     hidden_global_offset_y
      - .offset:         72
        .size:           8
        .value_kind:     hidden_global_offset_z
      - .offset:         80
        .size:           2
        .value_kind:     hidden_grid_dims
    .group_segment_fixed_size: 0
    .kernarg_segment_align: 8
    .kernarg_segment_size: 272
    .language:       OpenCL C
    .language_version:
      - 2
      - 0
    .max_flat_workgroup_size: 1024
    .name:           _Z17shuffle_up_kernelILj8EiEvPT0_j
    .private_segment_fixed_size: 0
    .sgpr_count:     9
    .sgpr_spill_count: 0
    .symbol:         _Z17shuffle_up_kernelILj8EiEvPT0_j.kd
    .uniform_work_group_size: 1
    .uses_dynamic_stack: false
    .vgpr_count:     5
    .vgpr_spill_count: 0
    .wavefront_size: 32
  - .args:
      - .address_space:  global
        .offset:         0
        .size:           8
        .value_kind:     global_buffer
      - .offset:         8
        .size:           4
        .value_kind:     by_value
      - .offset:         16
        .size:           4
        .value_kind:     hidden_block_count_x
      - .offset:         20
        .size:           4
        .value_kind:     hidden_block_count_y
      - .offset:         24
        .size:           4
        .value_kind:     hidden_block_count_z
      - .offset:         28
        .size:           2
        .value_kind:     hidden_group_size_x
      - .offset:         30
        .size:           2
        .value_kind:     hidden_group_size_y
      - .offset:         32
        .size:           2
        .value_kind:     hidden_group_size_z
      - .offset:         34
        .size:           2
        .value_kind:     hidden_remainder_x
      - .offset:         36
        .size:           2
        .value_kind:     hidden_remainder_y
      - .offset:         38
        .size:           2
        .value_kind:     hidden_remainder_z
      - .offset:         56
        .size:           8
        .value_kind:     hidden_global_offset_x
      - .offset:         64
        .size:           8
        .value_kind:     hidden_global_offset_y
      - .offset:         72
        .size:           8
        .value_kind:     hidden_global_offset_z
      - .offset:         80
        .size:           2
        .value_kind:     hidden_grid_dims
    .group_segment_fixed_size: 0
    .kernarg_segment_align: 8
    .kernarg_segment_size: 272
    .language:       OpenCL C
    .language_version:
      - 2
      - 0
    .max_flat_workgroup_size: 1024
    .name:           _Z17shuffle_up_kernelILj16EiEvPT0_j
    .private_segment_fixed_size: 0
    .sgpr_count:     9
    .sgpr_spill_count: 0
    .symbol:         _Z17shuffle_up_kernelILj16EiEvPT0_j.kd
    .uniform_work_group_size: 1
    .uses_dynamic_stack: false
    .vgpr_count:     5
    .vgpr_spill_count: 0
    .wavefront_size: 32
  - .args:
      - .address_space:  global
        .offset:         0
        .size:           8
        .value_kind:     global_buffer
      - .offset:         8
        .size:           4
        .value_kind:     by_value
      - .offset:         16
        .size:           4
        .value_kind:     hidden_block_count_x
      - .offset:         20
        .size:           4
        .value_kind:     hidden_block_count_y
      - .offset:         24
        .size:           4
        .value_kind:     hidden_block_count_z
      - .offset:         28
        .size:           2
        .value_kind:     hidden_group_size_x
      - .offset:         30
        .size:           2
        .value_kind:     hidden_group_size_y
      - .offset:         32
        .size:           2
        .value_kind:     hidden_group_size_z
      - .offset:         34
        .size:           2
        .value_kind:     hidden_remainder_x
      - .offset:         36
        .size:           2
        .value_kind:     hidden_remainder_y
      - .offset:         38
        .size:           2
        .value_kind:     hidden_remainder_z
      - .offset:         56
        .size:           8
        .value_kind:     hidden_global_offset_x
      - .offset:         64
        .size:           8
        .value_kind:     hidden_global_offset_y
      - .offset:         72
        .size:           8
        .value_kind:     hidden_global_offset_z
      - .offset:         80
        .size:           2
        .value_kind:     hidden_grid_dims
    .group_segment_fixed_size: 0
    .kernarg_segment_align: 8
    .kernarg_segment_size: 272
    .language:       OpenCL C
    .language_version:
      - 2
      - 0
    .max_flat_workgroup_size: 1024
    .name:           _Z17shuffle_up_kernelILj32EiEvPT0_j
    .private_segment_fixed_size: 0
    .sgpr_count:     9
    .sgpr_spill_count: 0
    .symbol:         _Z17shuffle_up_kernelILj32EiEvPT0_j.kd
    .uniform_work_group_size: 1
    .uses_dynamic_stack: false
    .vgpr_count:     4
    .vgpr_spill_count: 0
    .wavefront_size: 32
  - .args:
      - .address_space:  global
        .offset:         0
        .size:           8
        .value_kind:     global_buffer
      - .offset:         8
        .size:           4
        .value_kind:     by_value
      - .offset:         16
        .size:           4
        .value_kind:     hidden_block_count_x
      - .offset:         20
        .size:           4
        .value_kind:     hidden_block_count_y
      - .offset:         24
        .size:           4
        .value_kind:     hidden_block_count_z
      - .offset:         28
        .size:           2
        .value_kind:     hidden_group_size_x
      - .offset:         30
        .size:           2
        .value_kind:     hidden_group_size_y
      - .offset:         32
        .size:           2
        .value_kind:     hidden_group_size_z
      - .offset:         34
        .size:           2
        .value_kind:     hidden_remainder_x
      - .offset:         36
        .size:           2
        .value_kind:     hidden_remainder_y
      - .offset:         38
        .size:           2
        .value_kind:     hidden_remainder_z
      - .offset:         56
        .size:           8
        .value_kind:     hidden_global_offset_x
      - .offset:         64
        .size:           8
        .value_kind:     hidden_global_offset_y
      - .offset:         72
        .size:           8
        .value_kind:     hidden_global_offset_z
      - .offset:         80
        .size:           2
        .value_kind:     hidden_grid_dims
    .group_segment_fixed_size: 0
    .kernarg_segment_align: 8
    .kernarg_segment_size: 272
    .language:       OpenCL C
    .language_version:
      - 2
      - 0
    .max_flat_workgroup_size: 1024
    .name:           _Z19shuffle_down_kernelILj64E12hip_bfloat16EvPT0_j
    .private_segment_fixed_size: 0
    .sgpr_count:     9
    .sgpr_spill_count: 0
    .symbol:         _Z19shuffle_down_kernelILj64E12hip_bfloat16EvPT0_j.kd
    .uniform_work_group_size: 1
    .uses_dynamic_stack: false
    .vgpr_count:     4
    .vgpr_spill_count: 0
    .wavefront_size: 32
  - .args:
      - .address_space:  global
        .offset:         0
        .size:           8
        .value_kind:     global_buffer
      - .offset:         8
        .size:           4
        .value_kind:     by_value
      - .offset:         16
        .size:           4
        .value_kind:     hidden_block_count_x
      - .offset:         20
        .size:           4
        .value_kind:     hidden_block_count_y
      - .offset:         24
        .size:           4
        .value_kind:     hidden_block_count_z
      - .offset:         28
        .size:           2
        .value_kind:     hidden_group_size_x
      - .offset:         30
        .size:           2
        .value_kind:     hidden_group_size_y
      - .offset:         32
        .size:           2
        .value_kind:     hidden_group_size_z
      - .offset:         34
        .size:           2
        .value_kind:     hidden_remainder_x
      - .offset:         36
        .size:           2
        .value_kind:     hidden_remainder_y
      - .offset:         38
        .size:           2
        .value_kind:     hidden_remainder_z
      - .offset:         56
        .size:           8
        .value_kind:     hidden_global_offset_x
      - .offset:         64
        .size:           8
        .value_kind:     hidden_global_offset_y
      - .offset:         72
        .size:           8
        .value_kind:     hidden_global_offset_z
      - .offset:         80
        .size:           2
        .value_kind:     hidden_grid_dims
    .group_segment_fixed_size: 0
    .kernarg_segment_align: 8
    .kernarg_segment_size: 272
    .language:       OpenCL C
    .language_version:
      - 2
      - 0
    .max_flat_workgroup_size: 1024
    .name:           _Z19shuffle_down_kernelILj64E6__halfEvPT0_j
    .private_segment_fixed_size: 0
    .sgpr_count:     9
    .sgpr_spill_count: 0
    .symbol:         _Z19shuffle_down_kernelILj64E6__halfEvPT0_j.kd
    .uniform_work_group_size: 1
    .uses_dynamic_stack: false
    .vgpr_count:     4
    .vgpr_spill_count: 0
    .wavefront_size: 32
  - .args:
      - .address_space:  global
        .offset:         0
        .size:           8
        .value_kind:     global_buffer
      - .offset:         8
        .size:           4
        .value_kind:     by_value
      - .offset:         16
        .size:           4
        .value_kind:     hidden_block_count_x
      - .offset:         20
        .size:           4
        .value_kind:     hidden_block_count_y
      - .offset:         24
        .size:           4
        .value_kind:     hidden_block_count_z
      - .offset:         28
        .size:           2
        .value_kind:     hidden_group_size_x
      - .offset:         30
        .size:           2
        .value_kind:     hidden_group_size_y
      - .offset:         32
        .size:           2
        .value_kind:     hidden_group_size_z
      - .offset:         34
        .size:           2
        .value_kind:     hidden_remainder_x
      - .offset:         36
        .size:           2
        .value_kind:     hidden_remainder_y
      - .offset:         38
        .size:           2
        .value_kind:     hidden_remainder_z
      - .offset:         56
        .size:           8
        .value_kind:     hidden_global_offset_x
      - .offset:         64
        .size:           8
        .value_kind:     hidden_global_offset_y
      - .offset:         72
        .size:           8
        .value_kind:     hidden_global_offset_z
      - .offset:         80
        .size:           2
        .value_kind:     hidden_grid_dims
    .group_segment_fixed_size: 0
    .kernarg_segment_align: 8
    .kernarg_segment_size: 272
    .language:       OpenCL C
    .language_version:
      - 2
      - 0
    .max_flat_workgroup_size: 1024
    .name:           _Z19shuffle_down_kernelILj64EhEvPT0_j
    .private_segment_fixed_size: 0
    .sgpr_count:     9
    .sgpr_spill_count: 0
    .symbol:         _Z19shuffle_down_kernelILj64EhEvPT0_j.kd
    .uniform_work_group_size: 1
    .uses_dynamic_stack: false
    .vgpr_count:     4
    .vgpr_spill_count: 0
    .wavefront_size: 32
  - .args:
      - .address_space:  global
        .offset:         0
        .size:           8
        .value_kind:     global_buffer
      - .offset:         8
        .size:           4
        .value_kind:     by_value
      - .offset:         16
        .size:           4
        .value_kind:     hidden_block_count_x
      - .offset:         20
        .size:           4
        .value_kind:     hidden_block_count_y
      - .offset:         24
        .size:           4
        .value_kind:     hidden_block_count_z
      - .offset:         28
        .size:           2
        .value_kind:     hidden_group_size_x
      - .offset:         30
        .size:           2
        .value_kind:     hidden_group_size_y
      - .offset:         32
        .size:           2
        .value_kind:     hidden_group_size_z
      - .offset:         34
        .size:           2
        .value_kind:     hidden_remainder_x
      - .offset:         36
        .size:           2
        .value_kind:     hidden_remainder_y
      - .offset:         38
        .size:           2
        .value_kind:     hidden_remainder_z
      - .offset:         56
        .size:           8
        .value_kind:     hidden_global_offset_x
      - .offset:         64
        .size:           8
        .value_kind:     hidden_global_offset_y
      - .offset:         72
        .size:           8
        .value_kind:     hidden_global_offset_z
      - .offset:         80
        .size:           2
        .value_kind:     hidden_grid_dims
    .group_segment_fixed_size: 0
    .kernarg_segment_align: 8
    .kernarg_segment_size: 272
    .language:       OpenCL C
    .language_version:
      - 2
      - 0
    .max_flat_workgroup_size: 1024
    .name:           _Z19shuffle_down_kernelILj64EdEvPT0_j
    .private_segment_fixed_size: 0
    .sgpr_count:     9
    .sgpr_spill_count: 0
    .symbol:         _Z19shuffle_down_kernelILj64EdEvPT0_j.kd
    .uniform_work_group_size: 1
    .uses_dynamic_stack: false
    .vgpr_count:     5
    .vgpr_spill_count: 0
    .wavefront_size: 32
  - .args:
      - .address_space:  global
        .offset:         0
        .size:           8
        .value_kind:     global_buffer
      - .offset:         8
        .size:           4
        .value_kind:     by_value
      - .offset:         16
        .size:           4
        .value_kind:     hidden_block_count_x
      - .offset:         20
        .size:           4
        .value_kind:     hidden_block_count_y
      - .offset:         24
        .size:           4
        .value_kind:     hidden_block_count_z
      - .offset:         28
        .size:           2
        .value_kind:     hidden_group_size_x
      - .offset:         30
        .size:           2
        .value_kind:     hidden_group_size_y
      - .offset:         32
        .size:           2
        .value_kind:     hidden_group_size_z
      - .offset:         34
        .size:           2
        .value_kind:     hidden_remainder_x
      - .offset:         36
        .size:           2
        .value_kind:     hidden_remainder_y
      - .offset:         38
        .size:           2
        .value_kind:     hidden_remainder_z
      - .offset:         56
        .size:           8
        .value_kind:     hidden_global_offset_x
      - .offset:         64
        .size:           8
        .value_kind:     hidden_global_offset_y
      - .offset:         72
        .size:           8
        .value_kind:     hidden_global_offset_z
      - .offset:         80
        .size:           2
        .value_kind:     hidden_grid_dims
    .group_segment_fixed_size: 0
    .kernarg_segment_align: 8
    .kernarg_segment_size: 272
    .language:       OpenCL C
    .language_version:
      - 2
      - 0
    .max_flat_workgroup_size: 1024
    .name:           _Z19shuffle_down_kernelILj64EfEvPT0_j
    .private_segment_fixed_size: 0
    .sgpr_count:     9
    .sgpr_spill_count: 0
    .symbol:         _Z19shuffle_down_kernelILj64EfEvPT0_j.kd
    .uniform_work_group_size: 1
    .uses_dynamic_stack: false
    .vgpr_count:     4
    .vgpr_spill_count: 0
    .wavefront_size: 32
  - .args:
      - .address_space:  global
        .offset:         0
        .size:           8
        .value_kind:     global_buffer
      - .offset:         8
        .size:           4
        .value_kind:     by_value
      - .offset:         16
        .size:           4
        .value_kind:     hidden_block_count_x
      - .offset:         20
        .size:           4
        .value_kind:     hidden_block_count_y
      - .offset:         24
        .size:           4
        .value_kind:     hidden_block_count_z
      - .offset:         28
        .size:           2
        .value_kind:     hidden_group_size_x
      - .offset:         30
        .size:           2
        .value_kind:     hidden_group_size_y
      - .offset:         32
        .size:           2
        .value_kind:     hidden_group_size_z
      - .offset:         34
        .size:           2
        .value_kind:     hidden_remainder_x
      - .offset:         36
        .size:           2
        .value_kind:     hidden_remainder_y
      - .offset:         38
        .size:           2
        .value_kind:     hidden_remainder_z
      - .offset:         56
        .size:           8
        .value_kind:     hidden_global_offset_x
      - .offset:         64
        .size:           8
        .value_kind:     hidden_global_offset_y
      - .offset:         72
        .size:           8
        .value_kind:     hidden_global_offset_z
      - .offset:         80
        .size:           2
        .value_kind:     hidden_grid_dims
    .group_segment_fixed_size: 0
    .kernarg_segment_align: 8
    .kernarg_segment_size: 272
    .language:       OpenCL C
    .language_version:
      - 2
      - 0
    .max_flat_workgroup_size: 1024
    .name:           _Z19shuffle_down_kernelILj32EhEvPT0_j
    .private_segment_fixed_size: 0
    .sgpr_count:     9
    .sgpr_spill_count: 0
    .symbol:         _Z19shuffle_down_kernelILj32EhEvPT0_j.kd
    .uniform_work_group_size: 1
    .uses_dynamic_stack: false
    .vgpr_count:     4
    .vgpr_spill_count: 0
    .wavefront_size: 32
  - .args:
      - .address_space:  global
        .offset:         0
        .size:           8
        .value_kind:     global_buffer
      - .offset:         8
        .size:           4
        .value_kind:     by_value
      - .offset:         16
        .size:           4
        .value_kind:     hidden_block_count_x
      - .offset:         20
        .size:           4
        .value_kind:     hidden_block_count_y
      - .offset:         24
        .size:           4
        .value_kind:     hidden_block_count_z
      - .offset:         28
        .size:           2
        .value_kind:     hidden_group_size_x
      - .offset:         30
        .size:           2
        .value_kind:     hidden_group_size_y
      - .offset:         32
        .size:           2
        .value_kind:     hidden_group_size_z
      - .offset:         34
        .size:           2
        .value_kind:     hidden_remainder_x
      - .offset:         36
        .size:           2
        .value_kind:     hidden_remainder_y
      - .offset:         38
        .size:           2
        .value_kind:     hidden_remainder_z
      - .offset:         56
        .size:           8
        .value_kind:     hidden_global_offset_x
      - .offset:         64
        .size:           8
        .value_kind:     hidden_global_offset_y
      - .offset:         72
        .size:           8
        .value_kind:     hidden_global_offset_z
      - .offset:         80
        .size:           2
        .value_kind:     hidden_grid_dims
    .group_segment_fixed_size: 0
    .kernarg_segment_align: 8
    .kernarg_segment_size: 272
    .language:       OpenCL C
    .language_version:
      - 2
      - 0
    .max_flat_workgroup_size: 1024
    .name:           _Z19shuffle_down_kernelILj32E12hip_bfloat16EvPT0_j
    .private_segment_fixed_size: 0
    .sgpr_count:     9
    .sgpr_spill_count: 0
    .symbol:         _Z19shuffle_down_kernelILj32E12hip_bfloat16EvPT0_j.kd
    .uniform_work_group_size: 1
    .uses_dynamic_stack: false
    .vgpr_count:     4
    .vgpr_spill_count: 0
    .wavefront_size: 32
  - .args:
      - .address_space:  global
        .offset:         0
        .size:           8
        .value_kind:     global_buffer
      - .offset:         8
        .size:           4
        .value_kind:     by_value
      - .offset:         16
        .size:           4
        .value_kind:     hidden_block_count_x
      - .offset:         20
        .size:           4
        .value_kind:     hidden_block_count_y
      - .offset:         24
        .size:           4
        .value_kind:     hidden_block_count_z
      - .offset:         28
        .size:           2
        .value_kind:     hidden_group_size_x
      - .offset:         30
        .size:           2
        .value_kind:     hidden_group_size_y
      - .offset:         32
        .size:           2
        .value_kind:     hidden_group_size_z
      - .offset:         34
        .size:           2
        .value_kind:     hidden_remainder_x
      - .offset:         36
        .size:           2
        .value_kind:     hidden_remainder_y
      - .offset:         38
        .size:           2
        .value_kind:     hidden_remainder_z
      - .offset:         56
        .size:           8
        .value_kind:     hidden_global_offset_x
      - .offset:         64
        .size:           8
        .value_kind:     hidden_global_offset_y
      - .offset:         72
        .size:           8
        .value_kind:     hidden_global_offset_z
      - .offset:         80
        .size:           2
        .value_kind:     hidden_grid_dims
    .group_segment_fixed_size: 0
    .kernarg_segment_align: 8
    .kernarg_segment_size: 272
    .language:       OpenCL C
    .language_version:
      - 2
      - 0
    .max_flat_workgroup_size: 1024
    .name:           _Z19shuffle_down_kernelILj32E6__halfEvPT0_j
    .private_segment_fixed_size: 0
    .sgpr_count:     9
    .sgpr_spill_count: 0
    .symbol:         _Z19shuffle_down_kernelILj32E6__halfEvPT0_j.kd
    .uniform_work_group_size: 1
    .uses_dynamic_stack: false
    .vgpr_count:     4
    .vgpr_spill_count: 0
    .wavefront_size: 32
  - .args:
      - .address_space:  global
        .offset:         0
        .size:           8
        .value_kind:     global_buffer
      - .offset:         8
        .size:           4
        .value_kind:     by_value
      - .offset:         16
        .size:           4
        .value_kind:     hidden_block_count_x
      - .offset:         20
        .size:           4
        .value_kind:     hidden_block_count_y
      - .offset:         24
        .size:           4
        .value_kind:     hidden_block_count_z
      - .offset:         28
        .size:           2
        .value_kind:     hidden_group_size_x
      - .offset:         30
        .size:           2
        .value_kind:     hidden_group_size_y
      - .offset:         32
        .size:           2
        .value_kind:     hidden_group_size_z
      - .offset:         34
        .size:           2
        .value_kind:     hidden_remainder_x
      - .offset:         36
        .size:           2
        .value_kind:     hidden_remainder_y
      - .offset:         38
        .size:           2
        .value_kind:     hidden_remainder_z
      - .offset:         56
        .size:           8
        .value_kind:     hidden_global_offset_x
      - .offset:         64
        .size:           8
        .value_kind:     hidden_global_offset_y
      - .offset:         72
        .size:           8
        .value_kind:     hidden_global_offset_z
      - .offset:         80
        .size:           2
        .value_kind:     hidden_grid_dims
    .group_segment_fixed_size: 0
    .kernarg_segment_align: 8
    .kernarg_segment_size: 272
    .language:       OpenCL C
    .language_version:
      - 2
      - 0
    .max_flat_workgroup_size: 1024
    .name:           _Z19shuffle_down_kernelILj32EdEvPT0_j
    .private_segment_fixed_size: 0
    .sgpr_count:     9
    .sgpr_spill_count: 0
    .symbol:         _Z19shuffle_down_kernelILj32EdEvPT0_j.kd
    .uniform_work_group_size: 1
    .uses_dynamic_stack: false
    .vgpr_count:     5
    .vgpr_spill_count: 0
    .wavefront_size: 32
  - .args:
      - .address_space:  global
        .offset:         0
        .size:           8
        .value_kind:     global_buffer
      - .offset:         8
        .size:           4
        .value_kind:     by_value
      - .offset:         16
        .size:           4
        .value_kind:     hidden_block_count_x
      - .offset:         20
        .size:           4
        .value_kind:     hidden_block_count_y
      - .offset:         24
        .size:           4
        .value_kind:     hidden_block_count_z
      - .offset:         28
        .size:           2
        .value_kind:     hidden_group_size_x
      - .offset:         30
        .size:           2
        .value_kind:     hidden_group_size_y
      - .offset:         32
        .size:           2
        .value_kind:     hidden_group_size_z
      - .offset:         34
        .size:           2
        .value_kind:     hidden_remainder_x
      - .offset:         36
        .size:           2
        .value_kind:     hidden_remainder_y
      - .offset:         38
        .size:           2
        .value_kind:     hidden_remainder_z
      - .offset:         56
        .size:           8
        .value_kind:     hidden_global_offset_x
      - .offset:         64
        .size:           8
        .value_kind:     hidden_global_offset_y
      - .offset:         72
        .size:           8
        .value_kind:     hidden_global_offset_z
      - .offset:         80
        .size:           2
        .value_kind:     hidden_grid_dims
    .group_segment_fixed_size: 0
    .kernarg_segment_align: 8
    .kernarg_segment_size: 272
    .language:       OpenCL C
    .language_version:
      - 2
      - 0
    .max_flat_workgroup_size: 1024
    .name:           _Z19shuffle_down_kernelILj32EfEvPT0_j
    .private_segment_fixed_size: 0
    .sgpr_count:     9
    .sgpr_spill_count: 0
    .symbol:         _Z19shuffle_down_kernelILj32EfEvPT0_j.kd
    .uniform_work_group_size: 1
    .uses_dynamic_stack: false
    .vgpr_count:     4
    .vgpr_spill_count: 0
    .wavefront_size: 32
  - .args:
      - .address_space:  global
        .offset:         0
        .size:           8
        .value_kind:     global_buffer
      - .offset:         8
        .size:           4
        .value_kind:     by_value
      - .offset:         16
        .size:           4
        .value_kind:     hidden_block_count_x
      - .offset:         20
        .size:           4
        .value_kind:     hidden_block_count_y
      - .offset:         24
        .size:           4
        .value_kind:     hidden_block_count_z
      - .offset:         28
        .size:           2
        .value_kind:     hidden_group_size_x
      - .offset:         30
        .size:           2
        .value_kind:     hidden_group_size_y
      - .offset:         32
        .size:           2
        .value_kind:     hidden_group_size_z
      - .offset:         34
        .size:           2
        .value_kind:     hidden_remainder_x
      - .offset:         36
        .size:           2
        .value_kind:     hidden_remainder_y
      - .offset:         38
        .size:           2
        .value_kind:     hidden_remainder_z
      - .offset:         56
        .size:           8
        .value_kind:     hidden_global_offset_x
      - .offset:         64
        .size:           8
        .value_kind:     hidden_global_offset_y
      - .offset:         72
        .size:           8
        .value_kind:     hidden_global_offset_z
      - .offset:         80
        .size:           2
        .value_kind:     hidden_grid_dims
    .group_segment_fixed_size: 0
    .kernarg_segment_align: 8
    .kernarg_segment_size: 272
    .language:       OpenCL C
    .language_version:
      - 2
      - 0
    .max_flat_workgroup_size: 1024
    .name:           _Z19shuffle_down_kernelILj2EiEvPT0_j
    .private_segment_fixed_size: 0
    .sgpr_count:     9
    .sgpr_spill_count: 0
    .symbol:         _Z19shuffle_down_kernelILj2EiEvPT0_j.kd
    .uniform_work_group_size: 1
    .uses_dynamic_stack: false
    .vgpr_count:     4
    .vgpr_spill_count: 0
    .wavefront_size: 32
  - .args:
      - .address_space:  global
        .offset:         0
        .size:           8
        .value_kind:     global_buffer
      - .offset:         8
        .size:           4
        .value_kind:     by_value
      - .offset:         16
        .size:           4
        .value_kind:     hidden_block_count_x
      - .offset:         20
        .size:           4
        .value_kind:     hidden_block_count_y
      - .offset:         24
        .size:           4
        .value_kind:     hidden_block_count_z
      - .offset:         28
        .size:           2
        .value_kind:     hidden_group_size_x
      - .offset:         30
        .size:           2
        .value_kind:     hidden_group_size_y
      - .offset:         32
        .size:           2
        .value_kind:     hidden_group_size_z
      - .offset:         34
        .size:           2
        .value_kind:     hidden_remainder_x
      - .offset:         36
        .size:           2
        .value_kind:     hidden_remainder_y
      - .offset:         38
        .size:           2
        .value_kind:     hidden_remainder_z
      - .offset:         56
        .size:           8
        .value_kind:     hidden_global_offset_x
      - .offset:         64
        .size:           8
        .value_kind:     hidden_global_offset_y
      - .offset:         72
        .size:           8
        .value_kind:     hidden_global_offset_z
      - .offset:         80
        .size:           2
        .value_kind:     hidden_grid_dims
    .group_segment_fixed_size: 0
    .kernarg_segment_align: 8
    .kernarg_segment_size: 272
    .language:       OpenCL C
    .language_version:
      - 2
      - 0
    .max_flat_workgroup_size: 1024
    .name:           _Z19shuffle_down_kernelILj4EiEvPT0_j
    .private_segment_fixed_size: 0
    .sgpr_count:     9
    .sgpr_spill_count: 0
    .symbol:         _Z19shuffle_down_kernelILj4EiEvPT0_j.kd
    .uniform_work_group_size: 1
    .uses_dynamic_stack: false
    .vgpr_count:     4
    .vgpr_spill_count: 0
    .wavefront_size: 32
  - .args:
      - .address_space:  global
        .offset:         0
        .size:           8
        .value_kind:     global_buffer
      - .offset:         8
        .size:           4
        .value_kind:     by_value
      - .offset:         16
        .size:           4
        .value_kind:     hidden_block_count_x
      - .offset:         20
        .size:           4
        .value_kind:     hidden_block_count_y
      - .offset:         24
        .size:           4
        .value_kind:     hidden_block_count_z
      - .offset:         28
        .size:           2
        .value_kind:     hidden_group_size_x
      - .offset:         30
        .size:           2
        .value_kind:     hidden_group_size_y
      - .offset:         32
        .size:           2
        .value_kind:     hidden_group_size_z
      - .offset:         34
        .size:           2
        .value_kind:     hidden_remainder_x
      - .offset:         36
        .size:           2
        .value_kind:     hidden_remainder_y
      - .offset:         38
        .size:           2
        .value_kind:     hidden_remainder_z
      - .offset:         56
        .size:           8
        .value_kind:     hidden_global_offset_x
      - .offset:         64
        .size:           8
        .value_kind:     hidden_global_offset_y
      - .offset:         72
        .size:           8
        .value_kind:     hidden_global_offset_z
      - .offset:         80
        .size:           2
        .value_kind:     hidden_grid_dims
    .group_segment_fixed_size: 0
    .kernarg_segment_align: 8
    .kernarg_segment_size: 272
    .language:       OpenCL C
    .language_version:
      - 2
      - 0
    .max_flat_workgroup_size: 1024
    .name:           _Z19shuffle_down_kernelILj8EiEvPT0_j
    .private_segment_fixed_size: 0
    .sgpr_count:     9
    .sgpr_spill_count: 0
    .symbol:         _Z19shuffle_down_kernelILj8EiEvPT0_j.kd
    .uniform_work_group_size: 1
    .uses_dynamic_stack: false
    .vgpr_count:     4
    .vgpr_spill_count: 0
    .wavefront_size: 32
  - .args:
      - .address_space:  global
        .offset:         0
        .size:           8
        .value_kind:     global_buffer
      - .offset:         8
        .size:           4
        .value_kind:     by_value
      - .offset:         16
        .size:           4
        .value_kind:     hidden_block_count_x
      - .offset:         20
        .size:           4
        .value_kind:     hidden_block_count_y
      - .offset:         24
        .size:           4
        .value_kind:     hidden_block_count_z
      - .offset:         28
        .size:           2
        .value_kind:     hidden_group_size_x
      - .offset:         30
        .size:           2
        .value_kind:     hidden_group_size_y
      - .offset:         32
        .size:           2
        .value_kind:     hidden_group_size_z
      - .offset:         34
        .size:           2
        .value_kind:     hidden_remainder_x
      - .offset:         36
        .size:           2
        .value_kind:     hidden_remainder_y
      - .offset:         38
        .size:           2
        .value_kind:     hidden_remainder_z
      - .offset:         56
        .size:           8
        .value_kind:     hidden_global_offset_x
      - .offset:         64
        .size:           8
        .value_kind:     hidden_global_offset_y
      - .offset:         72
        .size:           8
        .value_kind:     hidden_global_offset_z
      - .offset:         80
        .size:           2
        .value_kind:     hidden_grid_dims
    .group_segment_fixed_size: 0
    .kernarg_segment_align: 8
    .kernarg_segment_size: 272
    .language:       OpenCL C
    .language_version:
      - 2
      - 0
    .max_flat_workgroup_size: 1024
    .name:           _Z19shuffle_down_kernelILj16EiEvPT0_j
    .private_segment_fixed_size: 0
    .sgpr_count:     9
    .sgpr_spill_count: 0
    .symbol:         _Z19shuffle_down_kernelILj16EiEvPT0_j.kd
    .uniform_work_group_size: 1
    .uses_dynamic_stack: false
    .vgpr_count:     4
    .vgpr_spill_count: 0
    .wavefront_size: 32
  - .args:
      - .address_space:  global
        .offset:         0
        .size:           8
        .value_kind:     global_buffer
      - .offset:         8
        .size:           4
        .value_kind:     by_value
      - .offset:         16
        .size:           4
        .value_kind:     hidden_block_count_x
      - .offset:         20
        .size:           4
        .value_kind:     hidden_block_count_y
      - .offset:         24
        .size:           4
        .value_kind:     hidden_block_count_z
      - .offset:         28
        .size:           2
        .value_kind:     hidden_group_size_x
      - .offset:         30
        .size:           2
        .value_kind:     hidden_group_size_y
      - .offset:         32
        .size:           2
        .value_kind:     hidden_group_size_z
      - .offset:         34
        .size:           2
        .value_kind:     hidden_remainder_x
      - .offset:         36
        .size:           2
        .value_kind:     hidden_remainder_y
      - .offset:         38
        .size:           2
        .value_kind:     hidden_remainder_z
      - .offset:         56
        .size:           8
        .value_kind:     hidden_global_offset_x
      - .offset:         64
        .size:           8
        .value_kind:     hidden_global_offset_y
      - .offset:         72
        .size:           8
        .value_kind:     hidden_global_offset_z
      - .offset:         80
        .size:           2
        .value_kind:     hidden_grid_dims
    .group_segment_fixed_size: 0
    .kernarg_segment_align: 8
    .kernarg_segment_size: 272
    .language:       OpenCL C
    .language_version:
      - 2
      - 0
    .max_flat_workgroup_size: 1024
    .name:           _Z19shuffle_down_kernelILj32EiEvPT0_j
    .private_segment_fixed_size: 0
    .sgpr_count:     9
    .sgpr_spill_count: 0
    .symbol:         _Z19shuffle_down_kernelILj32EiEvPT0_j.kd
    .uniform_work_group_size: 1
    .uses_dynamic_stack: false
    .vgpr_count:     4
    .vgpr_spill_count: 0
    .wavefront_size: 32
  - .args:
      - .address_space:  global
        .offset:         0
        .size:           8
        .value_kind:     global_buffer
      - .address_space:  global
        .offset:         8
        .size:           8
        .value_kind:     global_buffer
      - .offset:         16
        .size:           4
        .value_kind:     hidden_block_count_x
      - .offset:         20
        .size:           4
        .value_kind:     hidden_block_count_y
      - .offset:         24
        .size:           4
        .value_kind:     hidden_block_count_z
      - .offset:         28
        .size:           2
        .value_kind:     hidden_group_size_x
      - .offset:         30
        .size:           2
        .value_kind:     hidden_group_size_y
      - .offset:         32
        .size:           2
        .value_kind:     hidden_group_size_z
      - .offset:         34
        .size:           2
        .value_kind:     hidden_remainder_x
      - .offset:         36
        .size:           2
        .value_kind:     hidden_remainder_y
      - .offset:         38
        .size:           2
        .value_kind:     hidden_remainder_z
      - .offset:         56
        .size:           8
        .value_kind:     hidden_global_offset_x
      - .offset:         64
        .size:           8
        .value_kind:     hidden_global_offset_y
      - .offset:         72
        .size:           8
        .value_kind:     hidden_global_offset_z
      - .offset:         80
        .size:           2
        .value_kind:     hidden_grid_dims
    .group_segment_fixed_size: 0
    .kernarg_segment_align: 8
    .kernarg_segment_size: 272
    .language:       OpenCL C
    .language_version:
      - 2
      - 0
    .max_flat_workgroup_size: 1024
    .name:           _Z20shuffle_index_kernelILj64E12hip_bfloat16EvPT0_Pi
    .private_segment_fixed_size: 0
    .sgpr_count:     8
    .sgpr_spill_count: 0
    .symbol:         _Z20shuffle_index_kernelILj64E12hip_bfloat16EvPT0_Pi.kd
    .uniform_work_group_size: 1
    .uses_dynamic_stack: false
    .vgpr_count:     4
    .vgpr_spill_count: 0
    .wavefront_size: 32
  - .args:
      - .address_space:  global
        .offset:         0
        .size:           8
        .value_kind:     global_buffer
      - .address_space:  global
        .offset:         8
        .size:           8
        .value_kind:     global_buffer
      - .offset:         16
        .size:           4
        .value_kind:     hidden_block_count_x
      - .offset:         20
        .size:           4
        .value_kind:     hidden_block_count_y
      - .offset:         24
        .size:           4
        .value_kind:     hidden_block_count_z
      - .offset:         28
        .size:           2
        .value_kind:     hidden_group_size_x
      - .offset:         30
        .size:           2
        .value_kind:     hidden_group_size_y
      - .offset:         32
        .size:           2
        .value_kind:     hidden_group_size_z
      - .offset:         34
        .size:           2
        .value_kind:     hidden_remainder_x
      - .offset:         36
        .size:           2
        .value_kind:     hidden_remainder_y
      - .offset:         38
        .size:           2
        .value_kind:     hidden_remainder_z
      - .offset:         56
        .size:           8
        .value_kind:     hidden_global_offset_x
      - .offset:         64
        .size:           8
        .value_kind:     hidden_global_offset_y
      - .offset:         72
        .size:           8
        .value_kind:     hidden_global_offset_z
      - .offset:         80
        .size:           2
        .value_kind:     hidden_grid_dims
    .group_segment_fixed_size: 0
    .kernarg_segment_align: 8
    .kernarg_segment_size: 272
    .language:       OpenCL C
    .language_version:
      - 2
      - 0
    .max_flat_workgroup_size: 1024
    .name:           _Z20shuffle_index_kernelILj64E6__halfEvPT0_Pi
    .private_segment_fixed_size: 0
    .sgpr_count:     8
    .sgpr_spill_count: 0
    .symbol:         _Z20shuffle_index_kernelILj64E6__halfEvPT0_Pi.kd
    .uniform_work_group_size: 1
    .uses_dynamic_stack: false
    .vgpr_count:     4
    .vgpr_spill_count: 0
    .wavefront_size: 32
  - .args:
      - .address_space:  global
        .offset:         0
        .size:           8
        .value_kind:     global_buffer
      - .address_space:  global
        .offset:         8
        .size:           8
        .value_kind:     global_buffer
      - .offset:         16
        .size:           4
        .value_kind:     hidden_block_count_x
      - .offset:         20
        .size:           4
        .value_kind:     hidden_block_count_y
      - .offset:         24
        .size:           4
        .value_kind:     hidden_block_count_z
      - .offset:         28
        .size:           2
        .value_kind:     hidden_group_size_x
      - .offset:         30
        .size:           2
        .value_kind:     hidden_group_size_y
      - .offset:         32
        .size:           2
        .value_kind:     hidden_group_size_z
      - .offset:         34
        .size:           2
        .value_kind:     hidden_remainder_x
      - .offset:         36
        .size:           2
        .value_kind:     hidden_remainder_y
      - .offset:         38
        .size:           2
        .value_kind:     hidden_remainder_z
      - .offset:         56
        .size:           8
        .value_kind:     hidden_global_offset_x
      - .offset:         64
        .size:           8
        .value_kind:     hidden_global_offset_y
      - .offset:         72
        .size:           8
        .value_kind:     hidden_global_offset_z
      - .offset:         80
        .size:           2
        .value_kind:     hidden_grid_dims
    .group_segment_fixed_size: 0
    .kernarg_segment_align: 8
    .kernarg_segment_size: 272
    .language:       OpenCL C
    .language_version:
      - 2
      - 0
    .max_flat_workgroup_size: 1024
    .name:           _Z20shuffle_index_kernelILj64EhEvPT0_Pi
    .private_segment_fixed_size: 0
    .sgpr_count:     8
    .sgpr_spill_count: 0
    .symbol:         _Z20shuffle_index_kernelILj64EhEvPT0_Pi.kd
    .uniform_work_group_size: 1
    .uses_dynamic_stack: false
    .vgpr_count:     4
    .vgpr_spill_count: 0
    .wavefront_size: 32
  - .args:
      - .address_space:  global
        .offset:         0
        .size:           8
        .value_kind:     global_buffer
      - .address_space:  global
        .offset:         8
        .size:           8
        .value_kind:     global_buffer
      - .offset:         16
        .size:           4
        .value_kind:     hidden_block_count_x
      - .offset:         20
        .size:           4
        .value_kind:     hidden_block_count_y
      - .offset:         24
        .size:           4
        .value_kind:     hidden_block_count_z
      - .offset:         28
        .size:           2
        .value_kind:     hidden_group_size_x
      - .offset:         30
        .size:           2
        .value_kind:     hidden_group_size_y
      - .offset:         32
        .size:           2
        .value_kind:     hidden_group_size_z
      - .offset:         34
        .size:           2
        .value_kind:     hidden_remainder_x
      - .offset:         36
        .size:           2
        .value_kind:     hidden_remainder_y
      - .offset:         38
        .size:           2
        .value_kind:     hidden_remainder_z
      - .offset:         56
        .size:           8
        .value_kind:     hidden_global_offset_x
      - .offset:         64
        .size:           8
        .value_kind:     hidden_global_offset_y
      - .offset:         72
        .size:           8
        .value_kind:     hidden_global_offset_z
      - .offset:         80
        .size:           2
        .value_kind:     hidden_grid_dims
    .group_segment_fixed_size: 0
    .kernarg_segment_align: 8
    .kernarg_segment_size: 272
    .language:       OpenCL C
    .language_version:
      - 2
      - 0
    .max_flat_workgroup_size: 1024
    .name:           _Z20shuffle_index_kernelILj64EdEvPT0_Pi
    .private_segment_fixed_size: 0
    .sgpr_count:     8
    .sgpr_spill_count: 0
    .symbol:         _Z20shuffle_index_kernelILj64EdEvPT0_Pi.kd
    .uniform_work_group_size: 1
    .uses_dynamic_stack: false
    .vgpr_count:     5
    .vgpr_spill_count: 0
    .wavefront_size: 32
  - .args:
      - .address_space:  global
        .offset:         0
        .size:           8
        .value_kind:     global_buffer
      - .address_space:  global
        .offset:         8
        .size:           8
        .value_kind:     global_buffer
      - .offset:         16
        .size:           4
        .value_kind:     hidden_block_count_x
      - .offset:         20
        .size:           4
        .value_kind:     hidden_block_count_y
      - .offset:         24
        .size:           4
        .value_kind:     hidden_block_count_z
      - .offset:         28
        .size:           2
        .value_kind:     hidden_group_size_x
      - .offset:         30
        .size:           2
        .value_kind:     hidden_group_size_y
      - .offset:         32
        .size:           2
        .value_kind:     hidden_group_size_z
      - .offset:         34
        .size:           2
        .value_kind:     hidden_remainder_x
      - .offset:         36
        .size:           2
        .value_kind:     hidden_remainder_y
      - .offset:         38
        .size:           2
        .value_kind:     hidden_remainder_z
      - .offset:         56
        .size:           8
        .value_kind:     hidden_global_offset_x
      - .offset:         64
        .size:           8
        .value_kind:     hidden_global_offset_y
      - .offset:         72
        .size:           8
        .value_kind:     hidden_global_offset_z
      - .offset:         80
        .size:           2
        .value_kind:     hidden_grid_dims
    .group_segment_fixed_size: 0
    .kernarg_segment_align: 8
    .kernarg_segment_size: 272
    .language:       OpenCL C
    .language_version:
      - 2
      - 0
    .max_flat_workgroup_size: 1024
    .name:           _Z20shuffle_index_kernelILj64EfEvPT0_Pi
    .private_segment_fixed_size: 0
    .sgpr_count:     8
    .sgpr_spill_count: 0
    .symbol:         _Z20shuffle_index_kernelILj64EfEvPT0_Pi.kd
    .uniform_work_group_size: 1
    .uses_dynamic_stack: false
    .vgpr_count:     4
    .vgpr_spill_count: 0
    .wavefront_size: 32
  - .args:
      - .address_space:  global
        .offset:         0
        .size:           8
        .value_kind:     global_buffer
      - .address_space:  global
        .offset:         8
        .size:           8
        .value_kind:     global_buffer
      - .offset:         16
        .size:           4
        .value_kind:     hidden_block_count_x
      - .offset:         20
        .size:           4
        .value_kind:     hidden_block_count_y
      - .offset:         24
        .size:           4
        .value_kind:     hidden_block_count_z
      - .offset:         28
        .size:           2
        .value_kind:     hidden_group_size_x
      - .offset:         30
        .size:           2
        .value_kind:     hidden_group_size_y
      - .offset:         32
        .size:           2
        .value_kind:     hidden_group_size_z
      - .offset:         34
        .size:           2
        .value_kind:     hidden_remainder_x
      - .offset:         36
        .size:           2
        .value_kind:     hidden_remainder_y
      - .offset:         38
        .size:           2
        .value_kind:     hidden_remainder_z
      - .offset:         56
        .size:           8
        .value_kind:     hidden_global_offset_x
      - .offset:         64
        .size:           8
        .value_kind:     hidden_global_offset_y
      - .offset:         72
        .size:           8
        .value_kind:     hidden_global_offset_z
      - .offset:         80
        .size:           2
        .value_kind:     hidden_grid_dims
    .group_segment_fixed_size: 0
    .kernarg_segment_align: 8
    .kernarg_segment_size: 272
    .language:       OpenCL C
    .language_version:
      - 2
      - 0
    .max_flat_workgroup_size: 1024
    .name:           _Z20shuffle_index_kernelILj32EhEvPT0_Pi
    .private_segment_fixed_size: 0
    .sgpr_count:     8
    .sgpr_spill_count: 0
    .symbol:         _Z20shuffle_index_kernelILj32EhEvPT0_Pi.kd
    .uniform_work_group_size: 1
    .uses_dynamic_stack: false
    .vgpr_count:     4
    .vgpr_spill_count: 0
    .wavefront_size: 32
  - .args:
      - .address_space:  global
        .offset:         0
        .size:           8
        .value_kind:     global_buffer
      - .address_space:  global
        .offset:         8
        .size:           8
        .value_kind:     global_buffer
      - .offset:         16
        .size:           4
        .value_kind:     hidden_block_count_x
      - .offset:         20
        .size:           4
        .value_kind:     hidden_block_count_y
      - .offset:         24
        .size:           4
        .value_kind:     hidden_block_count_z
      - .offset:         28
        .size:           2
        .value_kind:     hidden_group_size_x
      - .offset:         30
        .size:           2
        .value_kind:     hidden_group_size_y
      - .offset:         32
        .size:           2
        .value_kind:     hidden_group_size_z
      - .offset:         34
        .size:           2
        .value_kind:     hidden_remainder_x
      - .offset:         36
        .size:           2
        .value_kind:     hidden_remainder_y
      - .offset:         38
        .size:           2
        .value_kind:     hidden_remainder_z
      - .offset:         56
        .size:           8
        .value_kind:     hidden_global_offset_x
      - .offset:         64
        .size:           8
        .value_kind:     hidden_global_offset_y
      - .offset:         72
        .size:           8
        .value_kind:     hidden_global_offset_z
      - .offset:         80
        .size:           2
        .value_kind:     hidden_grid_dims
    .group_segment_fixed_size: 0
    .kernarg_segment_align: 8
    .kernarg_segment_size: 272
    .language:       OpenCL C
    .language_version:
      - 2
      - 0
    .max_flat_workgroup_size: 1024
    .name:           _Z20shuffle_index_kernelILj32E12hip_bfloat16EvPT0_Pi
    .private_segment_fixed_size: 0
    .sgpr_count:     8
    .sgpr_spill_count: 0
    .symbol:         _Z20shuffle_index_kernelILj32E12hip_bfloat16EvPT0_Pi.kd
    .uniform_work_group_size: 1
    .uses_dynamic_stack: false
    .vgpr_count:     4
    .vgpr_spill_count: 0
    .wavefront_size: 32
  - .args:
      - .address_space:  global
        .offset:         0
        .size:           8
        .value_kind:     global_buffer
      - .address_space:  global
        .offset:         8
        .size:           8
        .value_kind:     global_buffer
      - .offset:         16
        .size:           4
        .value_kind:     hidden_block_count_x
      - .offset:         20
        .size:           4
        .value_kind:     hidden_block_count_y
      - .offset:         24
        .size:           4
        .value_kind:     hidden_block_count_z
      - .offset:         28
        .size:           2
        .value_kind:     hidden_group_size_x
      - .offset:         30
        .size:           2
        .value_kind:     hidden_group_size_y
      - .offset:         32
        .size:           2
        .value_kind:     hidden_group_size_z
      - .offset:         34
        .size:           2
        .value_kind:     hidden_remainder_x
      - .offset:         36
        .size:           2
        .value_kind:     hidden_remainder_y
      - .offset:         38
        .size:           2
        .value_kind:     hidden_remainder_z
      - .offset:         56
        .size:           8
        .value_kind:     hidden_global_offset_x
      - .offset:         64
        .size:           8
        .value_kind:     hidden_global_offset_y
      - .offset:         72
        .size:           8
        .value_kind:     hidden_global_offset_z
      - .offset:         80
        .size:           2
        .value_kind:     hidden_grid_dims
    .group_segment_fixed_size: 0
    .kernarg_segment_align: 8
    .kernarg_segment_size: 272
    .language:       OpenCL C
    .language_version:
      - 2
      - 0
    .max_flat_workgroup_size: 1024
    .name:           _Z20shuffle_index_kernelILj32E6__halfEvPT0_Pi
    .private_segment_fixed_size: 0
    .sgpr_count:     8
    .sgpr_spill_count: 0
    .symbol:         _Z20shuffle_index_kernelILj32E6__halfEvPT0_Pi.kd
    .uniform_work_group_size: 1
    .uses_dynamic_stack: false
    .vgpr_count:     4
    .vgpr_spill_count: 0
    .wavefront_size: 32
  - .args:
      - .address_space:  global
        .offset:         0
        .size:           8
        .value_kind:     global_buffer
      - .address_space:  global
        .offset:         8
        .size:           8
        .value_kind:     global_buffer
      - .offset:         16
        .size:           4
        .value_kind:     hidden_block_count_x
      - .offset:         20
        .size:           4
        .value_kind:     hidden_block_count_y
      - .offset:         24
        .size:           4
        .value_kind:     hidden_block_count_z
      - .offset:         28
        .size:           2
        .value_kind:     hidden_group_size_x
      - .offset:         30
        .size:           2
        .value_kind:     hidden_group_size_y
      - .offset:         32
        .size:           2
        .value_kind:     hidden_group_size_z
      - .offset:         34
        .size:           2
        .value_kind:     hidden_remainder_x
      - .offset:         36
        .size:           2
        .value_kind:     hidden_remainder_y
      - .offset:         38
        .size:           2
        .value_kind:     hidden_remainder_z
      - .offset:         56
        .size:           8
        .value_kind:     hidden_global_offset_x
      - .offset:         64
        .size:           8
        .value_kind:     hidden_global_offset_y
      - .offset:         72
        .size:           8
        .value_kind:     hidden_global_offset_z
      - .offset:         80
        .size:           2
        .value_kind:     hidden_grid_dims
    .group_segment_fixed_size: 0
    .kernarg_segment_align: 8
    .kernarg_segment_size: 272
    .language:       OpenCL C
    .language_version:
      - 2
      - 0
    .max_flat_workgroup_size: 1024
    .name:           _Z20shuffle_index_kernelILj32EdEvPT0_Pi
    .private_segment_fixed_size: 0
    .sgpr_count:     8
    .sgpr_spill_count: 0
    .symbol:         _Z20shuffle_index_kernelILj32EdEvPT0_Pi.kd
    .uniform_work_group_size: 1
    .uses_dynamic_stack: false
    .vgpr_count:     5
    .vgpr_spill_count: 0
    .wavefront_size: 32
  - .args:
      - .address_space:  global
        .offset:         0
        .size:           8
        .value_kind:     global_buffer
      - .address_space:  global
        .offset:         8
        .size:           8
        .value_kind:     global_buffer
      - .offset:         16
        .size:           4
        .value_kind:     hidden_block_count_x
      - .offset:         20
        .size:           4
        .value_kind:     hidden_block_count_y
      - .offset:         24
        .size:           4
        .value_kind:     hidden_block_count_z
      - .offset:         28
        .size:           2
        .value_kind:     hidden_group_size_x
      - .offset:         30
        .size:           2
        .value_kind:     hidden_group_size_y
      - .offset:         32
        .size:           2
        .value_kind:     hidden_group_size_z
      - .offset:         34
        .size:           2
        .value_kind:     hidden_remainder_x
      - .offset:         36
        .size:           2
        .value_kind:     hidden_remainder_y
      - .offset:         38
        .size:           2
        .value_kind:     hidden_remainder_z
      - .offset:         56
        .size:           8
        .value_kind:     hidden_global_offset_x
      - .offset:         64
        .size:           8
        .value_kind:     hidden_global_offset_y
      - .offset:         72
        .size:           8
        .value_kind:     hidden_global_offset_z
      - .offset:         80
        .size:           2
        .value_kind:     hidden_grid_dims
    .group_segment_fixed_size: 0
    .kernarg_segment_align: 8
    .kernarg_segment_size: 272
    .language:       OpenCL C
    .language_version:
      - 2
      - 0
    .max_flat_workgroup_size: 1024
    .name:           _Z20shuffle_index_kernelILj32EfEvPT0_Pi
    .private_segment_fixed_size: 0
    .sgpr_count:     8
    .sgpr_spill_count: 0
    .symbol:         _Z20shuffle_index_kernelILj32EfEvPT0_Pi.kd
    .uniform_work_group_size: 1
    .uses_dynamic_stack: false
    .vgpr_count:     4
    .vgpr_spill_count: 0
    .wavefront_size: 32
  - .args:
      - .address_space:  global
        .offset:         0
        .size:           8
        .value_kind:     global_buffer
      - .address_space:  global
        .offset:         8
        .size:           8
        .value_kind:     global_buffer
      - .offset:         16
        .size:           4
        .value_kind:     hidden_block_count_x
      - .offset:         20
        .size:           4
        .value_kind:     hidden_block_count_y
      - .offset:         24
        .size:           4
        .value_kind:     hidden_block_count_z
      - .offset:         28
        .size:           2
        .value_kind:     hidden_group_size_x
      - .offset:         30
        .size:           2
        .value_kind:     hidden_group_size_y
      - .offset:         32
        .size:           2
        .value_kind:     hidden_group_size_z
      - .offset:         34
        .size:           2
        .value_kind:     hidden_remainder_x
      - .offset:         36
        .size:           2
        .value_kind:     hidden_remainder_y
      - .offset:         38
        .size:           2
        .value_kind:     hidden_remainder_z
      - .offset:         56
        .size:           8
        .value_kind:     hidden_global_offset_x
      - .offset:         64
        .size:           8
        .value_kind:     hidden_global_offset_y
      - .offset:         72
        .size:           8
        .value_kind:     hidden_global_offset_z
      - .offset:         80
        .size:           2
        .value_kind:     hidden_grid_dims
    .group_segment_fixed_size: 0
    .kernarg_segment_align: 8
    .kernarg_segment_size: 272
    .language:       OpenCL C
    .language_version:
      - 2
      - 0
    .max_flat_workgroup_size: 1024
    .name:           _Z20shuffle_index_kernelILj2EiEvPT0_Pi
    .private_segment_fixed_size: 0
    .sgpr_count:     8
    .sgpr_spill_count: 0
    .symbol:         _Z20shuffle_index_kernelILj2EiEvPT0_Pi.kd
    .uniform_work_group_size: 1
    .uses_dynamic_stack: false
    .vgpr_count:     4
    .vgpr_spill_count: 0
    .wavefront_size: 32
  - .args:
      - .address_space:  global
        .offset:         0
        .size:           8
        .value_kind:     global_buffer
      - .address_space:  global
        .offset:         8
        .size:           8
        .value_kind:     global_buffer
      - .offset:         16
        .size:           4
        .value_kind:     hidden_block_count_x
      - .offset:         20
        .size:           4
        .value_kind:     hidden_block_count_y
      - .offset:         24
        .size:           4
        .value_kind:     hidden_block_count_z
      - .offset:         28
        .size:           2
        .value_kind:     hidden_group_size_x
      - .offset:         30
        .size:           2
        .value_kind:     hidden_group_size_y
      - .offset:         32
        .size:           2
        .value_kind:     hidden_group_size_z
      - .offset:         34
        .size:           2
        .value_kind:     hidden_remainder_x
      - .offset:         36
        .size:           2
        .value_kind:     hidden_remainder_y
      - .offset:         38
        .size:           2
        .value_kind:     hidden_remainder_z
      - .offset:         56
        .size:           8
        .value_kind:     hidden_global_offset_x
      - .offset:         64
        .size:           8
        .value_kind:     hidden_global_offset_y
      - .offset:         72
        .size:           8
        .value_kind:     hidden_global_offset_z
      - .offset:         80
        .size:           2
        .value_kind:     hidden_grid_dims
    .group_segment_fixed_size: 0
    .kernarg_segment_align: 8
    .kernarg_segment_size: 272
    .language:       OpenCL C
    .language_version:
      - 2
      - 0
    .max_flat_workgroup_size: 1024
    .name:           _Z20shuffle_index_kernelILj4EiEvPT0_Pi
    .private_segment_fixed_size: 0
    .sgpr_count:     8
    .sgpr_spill_count: 0
    .symbol:         _Z20shuffle_index_kernelILj4EiEvPT0_Pi.kd
    .uniform_work_group_size: 1
    .uses_dynamic_stack: false
    .vgpr_count:     4
    .vgpr_spill_count: 0
    .wavefront_size: 32
  - .args:
      - .address_space:  global
        .offset:         0
        .size:           8
        .value_kind:     global_buffer
      - .address_space:  global
        .offset:         8
        .size:           8
        .value_kind:     global_buffer
      - .offset:         16
        .size:           4
        .value_kind:     hidden_block_count_x
      - .offset:         20
        .size:           4
        .value_kind:     hidden_block_count_y
      - .offset:         24
        .size:           4
        .value_kind:     hidden_block_count_z
      - .offset:         28
        .size:           2
        .value_kind:     hidden_group_size_x
      - .offset:         30
        .size:           2
        .value_kind:     hidden_group_size_y
      - .offset:         32
        .size:           2
        .value_kind:     hidden_group_size_z
      - .offset:         34
        .size:           2
        .value_kind:     hidden_remainder_x
      - .offset:         36
        .size:           2
        .value_kind:     hidden_remainder_y
      - .offset:         38
        .size:           2
        .value_kind:     hidden_remainder_z
      - .offset:         56
        .size:           8
        .value_kind:     hidden_global_offset_x
      - .offset:         64
        .size:           8
        .value_kind:     hidden_global_offset_y
      - .offset:         72
        .size:           8
        .value_kind:     hidden_global_offset_z
      - .offset:         80
        .size:           2
        .value_kind:     hidden_grid_dims
    .group_segment_fixed_size: 0
    .kernarg_segment_align: 8
    .kernarg_segment_size: 272
    .language:       OpenCL C
    .language_version:
      - 2
      - 0
    .max_flat_workgroup_size: 1024
    .name:           _Z20shuffle_index_kernelILj8EiEvPT0_Pi
    .private_segment_fixed_size: 0
    .sgpr_count:     8
    .sgpr_spill_count: 0
    .symbol:         _Z20shuffle_index_kernelILj8EiEvPT0_Pi.kd
    .uniform_work_group_size: 1
    .uses_dynamic_stack: false
    .vgpr_count:     4
    .vgpr_spill_count: 0
    .wavefront_size: 32
  - .args:
      - .address_space:  global
        .offset:         0
        .size:           8
        .value_kind:     global_buffer
      - .address_space:  global
        .offset:         8
        .size:           8
        .value_kind:     global_buffer
      - .offset:         16
        .size:           4
        .value_kind:     hidden_block_count_x
      - .offset:         20
        .size:           4
        .value_kind:     hidden_block_count_y
      - .offset:         24
        .size:           4
        .value_kind:     hidden_block_count_z
      - .offset:         28
        .size:           2
        .value_kind:     hidden_group_size_x
      - .offset:         30
        .size:           2
        .value_kind:     hidden_group_size_y
      - .offset:         32
        .size:           2
        .value_kind:     hidden_group_size_z
      - .offset:         34
        .size:           2
        .value_kind:     hidden_remainder_x
      - .offset:         36
        .size:           2
        .value_kind:     hidden_remainder_y
      - .offset:         38
        .size:           2
        .value_kind:     hidden_remainder_z
      - .offset:         56
        .size:           8
        .value_kind:     hidden_global_offset_x
      - .offset:         64
        .size:           8
        .value_kind:     hidden_global_offset_y
      - .offset:         72
        .size:           8
        .value_kind:     hidden_global_offset_z
      - .offset:         80
        .size:           2
        .value_kind:     hidden_grid_dims
    .group_segment_fixed_size: 0
    .kernarg_segment_align: 8
    .kernarg_segment_size: 272
    .language:       OpenCL C
    .language_version:
      - 2
      - 0
    .max_flat_workgroup_size: 1024
    .name:           _Z20shuffle_index_kernelILj16EiEvPT0_Pi
    .private_segment_fixed_size: 0
    .sgpr_count:     8
    .sgpr_spill_count: 0
    .symbol:         _Z20shuffle_index_kernelILj16EiEvPT0_Pi.kd
    .uniform_work_group_size: 1
    .uses_dynamic_stack: false
    .vgpr_count:     4
    .vgpr_spill_count: 0
    .wavefront_size: 32
  - .args:
      - .address_space:  global
        .offset:         0
        .size:           8
        .value_kind:     global_buffer
      - .address_space:  global
        .offset:         8
        .size:           8
        .value_kind:     global_buffer
      - .offset:         16
        .size:           4
        .value_kind:     hidden_block_count_x
      - .offset:         20
        .size:           4
        .value_kind:     hidden_block_count_y
      - .offset:         24
        .size:           4
        .value_kind:     hidden_block_count_z
      - .offset:         28
        .size:           2
        .value_kind:     hidden_group_size_x
      - .offset:         30
        .size:           2
        .value_kind:     hidden_group_size_y
      - .offset:         32
        .size:           2
        .value_kind:     hidden_group_size_z
      - .offset:         34
        .size:           2
        .value_kind:     hidden_remainder_x
      - .offset:         36
        .size:           2
        .value_kind:     hidden_remainder_y
      - .offset:         38
        .size:           2
        .value_kind:     hidden_remainder_z
      - .offset:         56
        .size:           8
        .value_kind:     hidden_global_offset_x
      - .offset:         64
        .size:           8
        .value_kind:     hidden_global_offset_y
      - .offset:         72
        .size:           8
        .value_kind:     hidden_global_offset_z
      - .offset:         80
        .size:           2
        .value_kind:     hidden_grid_dims
    .group_segment_fixed_size: 0
    .kernarg_segment_align: 8
    .kernarg_segment_size: 272
    .language:       OpenCL C
    .language_version:
      - 2
      - 0
    .max_flat_workgroup_size: 1024
    .name:           _Z20shuffle_index_kernelILj32EiEvPT0_Pi
    .private_segment_fixed_size: 0
    .sgpr_count:     8
    .sgpr_spill_count: 0
    .symbol:         _Z20shuffle_index_kernelILj32EiEvPT0_Pi.kd
    .uniform_work_group_size: 1
    .uses_dynamic_stack: false
    .vgpr_count:     4
    .vgpr_spill_count: 0
    .wavefront_size: 32
  - .args:
      - .address_space:  global
        .offset:         0
        .size:           8
        .value_kind:     global_buffer
      - .offset:         8
        .size:           4
        .value_kind:     by_value
      - .offset:         16
        .size:           4
        .value_kind:     hidden_block_count_x
      - .offset:         20
        .size:           4
        .value_kind:     hidden_block_count_y
      - .offset:         24
        .size:           4
        .value_kind:     hidden_block_count_z
      - .offset:         28
        .size:           2
        .value_kind:     hidden_group_size_x
      - .offset:         30
        .size:           2
        .value_kind:     hidden_group_size_y
      - .offset:         32
        .size:           2
        .value_kind:     hidden_group_size_z
      - .offset:         34
        .size:           2
        .value_kind:     hidden_remainder_x
      - .offset:         36
        .size:           2
        .value_kind:     hidden_remainder_y
      - .offset:         38
        .size:           2
        .value_kind:     hidden_remainder_z
      - .offset:         56
        .size:           8
        .value_kind:     hidden_global_offset_x
      - .offset:         64
        .size:           8
        .value_kind:     hidden_global_offset_y
      - .offset:         72
        .size:           8
        .value_kind:     hidden_global_offset_z
      - .offset:         80
        .size:           2
        .value_kind:     hidden_grid_dims
    .group_segment_fixed_size: 0
    .kernarg_segment_align: 8
    .kernarg_segment_size: 272
    .language:       OpenCL C
    .language_version:
      - 2
      - 0
    .max_flat_workgroup_size: 1024
    .name:           _Z17shuffle_up_kernelILj32E17custom_notalignedEvPT0_j
    .private_segment_fixed_size: 0
    .sgpr_count:     9
    .sgpr_spill_count: 0
    .symbol:         _Z17shuffle_up_kernelILj32E17custom_notalignedEvPT0_j.kd
    .uniform_work_group_size: 1
    .uses_dynamic_stack: false
    .vgpr_count:     10
    .vgpr_spill_count: 0
    .wavefront_size: 32
  - .args:
      - .address_space:  global
        .offset:         0
        .size:           8
        .value_kind:     global_buffer
      - .offset:         8
        .size:           4
        .value_kind:     by_value
      - .offset:         16
        .size:           4
        .value_kind:     hidden_block_count_x
      - .offset:         20
        .size:           4
        .value_kind:     hidden_block_count_y
      - .offset:         24
        .size:           4
        .value_kind:     hidden_block_count_z
      - .offset:         28
        .size:           2
        .value_kind:     hidden_group_size_x
      - .offset:         30
        .size:           2
        .value_kind:     hidden_group_size_y
      - .offset:         32
        .size:           2
        .value_kind:     hidden_group_size_z
      - .offset:         34
        .size:           2
        .value_kind:     hidden_remainder_x
      - .offset:         36
        .size:           2
        .value_kind:     hidden_remainder_y
      - .offset:         38
        .size:           2
        .value_kind:     hidden_remainder_z
      - .offset:         56
        .size:           8
        .value_kind:     hidden_global_offset_x
      - .offset:         64
        .size:           8
        .value_kind:     hidden_global_offset_y
      - .offset:         72
        .size:           8
        .value_kind:     hidden_global_offset_z
      - .offset:         80
        .size:           2
        .value_kind:     hidden_grid_dims
    .group_segment_fixed_size: 0
    .kernarg_segment_align: 8
    .kernarg_segment_size: 272
    .language:       OpenCL C
    .language_version:
      - 2
      - 0
    .max_flat_workgroup_size: 1024
    .name:           _Z17shuffle_up_kernelILj64E17custom_notalignedEvPT0_j
    .private_segment_fixed_size: 0
    .sgpr_count:     9
    .sgpr_spill_count: 0
    .symbol:         _Z17shuffle_up_kernelILj64E17custom_notalignedEvPT0_j.kd
    .uniform_work_group_size: 1
    .uses_dynamic_stack: false
    .vgpr_count:     10
    .vgpr_spill_count: 0
    .wavefront_size: 32
  - .args:
      - .address_space:  global
        .offset:         0
        .size:           8
        .value_kind:     global_buffer
      - .offset:         8
        .size:           4
        .value_kind:     by_value
      - .offset:         16
        .size:           4
        .value_kind:     hidden_block_count_x
      - .offset:         20
        .size:           4
        .value_kind:     hidden_block_count_y
      - .offset:         24
        .size:           4
        .value_kind:     hidden_block_count_z
      - .offset:         28
        .size:           2
        .value_kind:     hidden_group_size_x
      - .offset:         30
        .size:           2
        .value_kind:     hidden_group_size_y
      - .offset:         32
        .size:           2
        .value_kind:     hidden_group_size_z
      - .offset:         34
        .size:           2
        .value_kind:     hidden_remainder_x
      - .offset:         36
        .size:           2
        .value_kind:     hidden_remainder_y
      - .offset:         38
        .size:           2
        .value_kind:     hidden_remainder_z
      - .offset:         56
        .size:           8
        .value_kind:     hidden_global_offset_x
      - .offset:         64
        .size:           8
        .value_kind:     hidden_global_offset_y
      - .offset:         72
        .size:           8
        .value_kind:     hidden_global_offset_z
      - .offset:         80
        .size:           2
        .value_kind:     hidden_grid_dims
    .group_segment_fixed_size: 0
    .kernarg_segment_align: 8
    .kernarg_segment_size: 272
    .language:       OpenCL C
    .language_version:
      - 2
      - 0
    .max_flat_workgroup_size: 1024
    .name:           _Z17shuffle_up_kernelILj32E16custom_16alignedEvPT0_j
    .private_segment_fixed_size: 0
    .sgpr_count:     9
    .sgpr_spill_count: 0
    .symbol:         _Z17shuffle_up_kernelILj32E16custom_16alignedEvPT0_j.kd
    .uniform_work_group_size: 1
    .uses_dynamic_stack: false
    .vgpr_count:     7
    .vgpr_spill_count: 0
    .wavefront_size: 32
  - .args:
      - .address_space:  global
        .offset:         0
        .size:           8
        .value_kind:     global_buffer
      - .offset:         8
        .size:           4
        .value_kind:     by_value
      - .offset:         16
        .size:           4
        .value_kind:     hidden_block_count_x
      - .offset:         20
        .size:           4
        .value_kind:     hidden_block_count_y
      - .offset:         24
        .size:           4
        .value_kind:     hidden_block_count_z
      - .offset:         28
        .size:           2
        .value_kind:     hidden_group_size_x
      - .offset:         30
        .size:           2
        .value_kind:     hidden_group_size_y
      - .offset:         32
        .size:           2
        .value_kind:     hidden_group_size_z
      - .offset:         34
        .size:           2
        .value_kind:     hidden_remainder_x
      - .offset:         36
        .size:           2
        .value_kind:     hidden_remainder_y
      - .offset:         38
        .size:           2
        .value_kind:     hidden_remainder_z
      - .offset:         56
        .size:           8
        .value_kind:     hidden_global_offset_x
      - .offset:         64
        .size:           8
        .value_kind:     hidden_global_offset_y
      - .offset:         72
        .size:           8
        .value_kind:     hidden_global_offset_z
      - .offset:         80
        .size:           2
        .value_kind:     hidden_grid_dims
    .group_segment_fixed_size: 0
    .kernarg_segment_align: 8
    .kernarg_segment_size: 272
    .language:       OpenCL C
    .language_version:
      - 2
      - 0
    .max_flat_workgroup_size: 1024
    .name:           _Z17shuffle_up_kernelILj64E16custom_16alignedEvPT0_j
    .private_segment_fixed_size: 0
    .sgpr_count:     9
    .sgpr_spill_count: 0
    .symbol:         _Z17shuffle_up_kernelILj64E16custom_16alignedEvPT0_j.kd
    .uniform_work_group_size: 1
    .uses_dynamic_stack: false
    .vgpr_count:     7
    .vgpr_spill_count: 0
    .wavefront_size: 32
  - .args:
      - .address_space:  global
        .offset:         0
        .size:           8
        .value_kind:     global_buffer
    .group_segment_fixed_size: 0
    .kernarg_segment_align: 8
    .kernarg_segment_size: 8
    .language:       OpenCL C
    .language_version:
      - 2
      - 0
    .max_flat_workgroup_size: 1024
    .name:           _Z21device_test_warp_maskILj1EEvP10TestStatus
    .private_segment_fixed_size: 0
    .sgpr_count:     20
    .sgpr_spill_count: 0
    .symbol:         _Z21device_test_warp_maskILj1EEvP10TestStatus.kd
    .uniform_work_group_size: 1
    .uses_dynamic_stack: false
    .vgpr_count:     20
    .vgpr_spill_count: 0
    .wavefront_size: 32
  - .args:
      - .address_space:  global
        .offset:         0
        .size:           8
        .value_kind:     global_buffer
    .group_segment_fixed_size: 0
    .kernarg_segment_align: 8
    .kernarg_segment_size: 8
    .language:       OpenCL C
    .language_version:
      - 2
      - 0
    .max_flat_workgroup_size: 1024
    .name:           _Z21device_test_warp_maskILj2EEvP10TestStatus
    .private_segment_fixed_size: 0
    .sgpr_count:     20
    .sgpr_spill_count: 0
    .symbol:         _Z21device_test_warp_maskILj2EEvP10TestStatus.kd
    .uniform_work_group_size: 1
    .uses_dynamic_stack: false
    .vgpr_count:     22
    .vgpr_spill_count: 0
    .wavefront_size: 32
  - .args:
      - .address_space:  global
        .offset:         0
        .size:           8
        .value_kind:     global_buffer
    .group_segment_fixed_size: 0
    .kernarg_segment_align: 8
    .kernarg_segment_size: 8
    .language:       OpenCL C
    .language_version:
      - 2
      - 0
    .max_flat_workgroup_size: 1024
    .name:           _Z21device_test_warp_maskILj3EEvP10TestStatus
    .private_segment_fixed_size: 0
    .sgpr_count:     8
    .sgpr_spill_count: 0
    .symbol:         _Z21device_test_warp_maskILj3EEvP10TestStatus.kd
    .uniform_work_group_size: 1
    .uses_dynamic_stack: false
    .vgpr_count:     2
    .vgpr_spill_count: 0
    .wavefront_size: 32
  - .args:
      - .address_space:  global
        .offset:         0
        .size:           8
        .value_kind:     global_buffer
    .group_segment_fixed_size: 0
    .kernarg_segment_align: 8
    .kernarg_segment_size: 8
    .language:       OpenCL C
    .language_version:
      - 2
      - 0
    .max_flat_workgroup_size: 1024
    .name:           _Z21device_test_warp_maskILj4EEvP10TestStatus
    .private_segment_fixed_size: 0
    .sgpr_count:     20
    .sgpr_spill_count: 0
    .symbol:         _Z21device_test_warp_maskILj4EEvP10TestStatus.kd
    .uniform_work_group_size: 1
    .uses_dynamic_stack: false
    .vgpr_count:     20
    .vgpr_spill_count: 0
    .wavefront_size: 32
  - .args:
      - .address_space:  global
        .offset:         0
        .size:           8
        .value_kind:     global_buffer
    .group_segment_fixed_size: 0
    .kernarg_segment_align: 8
    .kernarg_segment_size: 8
    .language:       OpenCL C
    .language_version:
      - 2
      - 0
    .max_flat_workgroup_size: 1024
    .name:           _Z21device_test_warp_maskILj5EEvP10TestStatus
    .private_segment_fixed_size: 0
    .sgpr_count:     8
    .sgpr_spill_count: 0
    .symbol:         _Z21device_test_warp_maskILj5EEvP10TestStatus.kd
    .uniform_work_group_size: 1
    .uses_dynamic_stack: false
    .vgpr_count:     2
    .vgpr_spill_count: 0
    .wavefront_size: 32
  - .args:
      - .address_space:  global
        .offset:         0
        .size:           8
        .value_kind:     global_buffer
    .group_segment_fixed_size: 0
    .kernarg_segment_align: 8
    .kernarg_segment_size: 8
    .language:       OpenCL C
    .language_version:
      - 2
      - 0
    .max_flat_workgroup_size: 1024
    .name:           _Z21device_test_warp_maskILj6EEvP10TestStatus
    .private_segment_fixed_size: 0
    .sgpr_count:     8
    .sgpr_spill_count: 0
    .symbol:         _Z21device_test_warp_maskILj6EEvP10TestStatus.kd
    .uniform_work_group_size: 1
    .uses_dynamic_stack: false
    .vgpr_count:     2
    .vgpr_spill_count: 0
    .wavefront_size: 32
  - .args:
      - .address_space:  global
        .offset:         0
        .size:           8
        .value_kind:     global_buffer
    .group_segment_fixed_size: 0
    .kernarg_segment_align: 8
    .kernarg_segment_size: 8
    .language:       OpenCL C
    .language_version:
      - 2
      - 0
    .max_flat_workgroup_size: 1024
    .name:           _Z21device_test_warp_maskILj7EEvP10TestStatus
    .private_segment_fixed_size: 0
    .sgpr_count:     8
    .sgpr_spill_count: 0
    .symbol:         _Z21device_test_warp_maskILj7EEvP10TestStatus.kd
    .uniform_work_group_size: 1
    .uses_dynamic_stack: false
    .vgpr_count:     2
    .vgpr_spill_count: 0
    .wavefront_size: 32
  - .args:
      - .address_space:  global
        .offset:         0
        .size:           8
        .value_kind:     global_buffer
    .group_segment_fixed_size: 0
    .kernarg_segment_align: 8
    .kernarg_segment_size: 8
    .language:       OpenCL C
    .language_version:
      - 2
      - 0
    .max_flat_workgroup_size: 1024
    .name:           _Z21device_test_warp_maskILj8EEvP10TestStatus
    .private_segment_fixed_size: 0
    .sgpr_count:     20
    .sgpr_spill_count: 0
    .symbol:         _Z21device_test_warp_maskILj8EEvP10TestStatus.kd
    .uniform_work_group_size: 1
    .uses_dynamic_stack: false
    .vgpr_count:     20
    .vgpr_spill_count: 0
    .wavefront_size: 32
  - .args:
      - .address_space:  global
        .offset:         0
        .size:           8
        .value_kind:     global_buffer
    .group_segment_fixed_size: 0
    .kernarg_segment_align: 8
    .kernarg_segment_size: 8
    .language:       OpenCL C
    .language_version:
      - 2
      - 0
    .max_flat_workgroup_size: 1024
    .name:           _Z21device_test_warp_maskILj9EEvP10TestStatus
    .private_segment_fixed_size: 0
    .sgpr_count:     8
    .sgpr_spill_count: 0
    .symbol:         _Z21device_test_warp_maskILj9EEvP10TestStatus.kd
    .uniform_work_group_size: 1
    .uses_dynamic_stack: false
    .vgpr_count:     2
    .vgpr_spill_count: 0
    .wavefront_size: 32
  - .args:
      - .address_space:  global
        .offset:         0
        .size:           8
        .value_kind:     global_buffer
    .group_segment_fixed_size: 0
    .kernarg_segment_align: 8
    .kernarg_segment_size: 8
    .language:       OpenCL C
    .language_version:
      - 2
      - 0
    .max_flat_workgroup_size: 1024
    .name:           _Z21device_test_warp_maskILj10EEvP10TestStatus
    .private_segment_fixed_size: 0
    .sgpr_count:     8
    .sgpr_spill_count: 0
    .symbol:         _Z21device_test_warp_maskILj10EEvP10TestStatus.kd
    .uniform_work_group_size: 1
    .uses_dynamic_stack: false
    .vgpr_count:     2
    .vgpr_spill_count: 0
    .wavefront_size: 32
  - .args:
      - .address_space:  global
        .offset:         0
        .size:           8
        .value_kind:     global_buffer
    .group_segment_fixed_size: 0
    .kernarg_segment_align: 8
    .kernarg_segment_size: 8
    .language:       OpenCL C
    .language_version:
      - 2
      - 0
    .max_flat_workgroup_size: 1024
    .name:           _Z21device_test_warp_maskILj11EEvP10TestStatus
    .private_segment_fixed_size: 0
    .sgpr_count:     8
    .sgpr_spill_count: 0
    .symbol:         _Z21device_test_warp_maskILj11EEvP10TestStatus.kd
    .uniform_work_group_size: 1
    .uses_dynamic_stack: false
    .vgpr_count:     2
    .vgpr_spill_count: 0
    .wavefront_size: 32
  - .args:
      - .address_space:  global
        .offset:         0
        .size:           8
        .value_kind:     global_buffer
    .group_segment_fixed_size: 0
    .kernarg_segment_align: 8
    .kernarg_segment_size: 8
    .language:       OpenCL C
    .language_version:
      - 2
      - 0
    .max_flat_workgroup_size: 1024
    .name:           _Z21device_test_warp_maskILj12EEvP10TestStatus
    .private_segment_fixed_size: 0
    .sgpr_count:     8
    .sgpr_spill_count: 0
    .symbol:         _Z21device_test_warp_maskILj12EEvP10TestStatus.kd
    .uniform_work_group_size: 1
    .uses_dynamic_stack: false
    .vgpr_count:     2
    .vgpr_spill_count: 0
    .wavefront_size: 32
  - .args:
      - .address_space:  global
        .offset:         0
        .size:           8
        .value_kind:     global_buffer
    .group_segment_fixed_size: 0
    .kernarg_segment_align: 8
    .kernarg_segment_size: 8
    .language:       OpenCL C
    .language_version:
      - 2
      - 0
    .max_flat_workgroup_size: 1024
    .name:           _Z21device_test_warp_maskILj13EEvP10TestStatus
    .private_segment_fixed_size: 0
    .sgpr_count:     8
    .sgpr_spill_count: 0
    .symbol:         _Z21device_test_warp_maskILj13EEvP10TestStatus.kd
    .uniform_work_group_size: 1
    .uses_dynamic_stack: false
    .vgpr_count:     2
    .vgpr_spill_count: 0
    .wavefront_size: 32
  - .args:
      - .address_space:  global
        .offset:         0
        .size:           8
        .value_kind:     global_buffer
    .group_segment_fixed_size: 0
    .kernarg_segment_align: 8
    .kernarg_segment_size: 8
    .language:       OpenCL C
    .language_version:
      - 2
      - 0
    .max_flat_workgroup_size: 1024
    .name:           _Z21device_test_warp_maskILj14EEvP10TestStatus
    .private_segment_fixed_size: 0
    .sgpr_count:     8
    .sgpr_spill_count: 0
    .symbol:         _Z21device_test_warp_maskILj14EEvP10TestStatus.kd
    .uniform_work_group_size: 1
    .uses_dynamic_stack: false
    .vgpr_count:     2
    .vgpr_spill_count: 0
    .wavefront_size: 32
  - .args:
      - .address_space:  global
        .offset:         0
        .size:           8
        .value_kind:     global_buffer
    .group_segment_fixed_size: 0
    .kernarg_segment_align: 8
    .kernarg_segment_size: 8
    .language:       OpenCL C
    .language_version:
      - 2
      - 0
    .max_flat_workgroup_size: 1024
    .name:           _Z21device_test_warp_maskILj15EEvP10TestStatus
    .private_segment_fixed_size: 0
    .sgpr_count:     8
    .sgpr_spill_count: 0
    .symbol:         _Z21device_test_warp_maskILj15EEvP10TestStatus.kd
    .uniform_work_group_size: 1
    .uses_dynamic_stack: false
    .vgpr_count:     2
    .vgpr_spill_count: 0
    .wavefront_size: 32
  - .args:
      - .address_space:  global
        .offset:         0
        .size:           8
        .value_kind:     global_buffer
    .group_segment_fixed_size: 0
    .kernarg_segment_align: 8
    .kernarg_segment_size: 8
    .language:       OpenCL C
    .language_version:
      - 2
      - 0
    .max_flat_workgroup_size: 1024
    .name:           _Z21device_test_warp_maskILj16EEvP10TestStatus
    .private_segment_fixed_size: 0
    .sgpr_count:     21
    .sgpr_spill_count: 0
    .symbol:         _Z21device_test_warp_maskILj16EEvP10TestStatus.kd
    .uniform_work_group_size: 1
    .uses_dynamic_stack: false
    .vgpr_count:     20
    .vgpr_spill_count: 0
    .wavefront_size: 32
  - .args:
      - .address_space:  global
        .offset:         0
        .size:           8
        .value_kind:     global_buffer
    .group_segment_fixed_size: 0
    .kernarg_segment_align: 8
    .kernarg_segment_size: 8
    .language:       OpenCL C
    .language_version:
      - 2
      - 0
    .max_flat_workgroup_size: 1024
    .name:           _Z21device_test_warp_maskILj17EEvP10TestStatus
    .private_segment_fixed_size: 0
    .sgpr_count:     8
    .sgpr_spill_count: 0
    .symbol:         _Z21device_test_warp_maskILj17EEvP10TestStatus.kd
    .uniform_work_group_size: 1
    .uses_dynamic_stack: false
    .vgpr_count:     2
    .vgpr_spill_count: 0
    .wavefront_size: 32
  - .args:
      - .address_space:  global
        .offset:         0
        .size:           8
        .value_kind:     global_buffer
    .group_segment_fixed_size: 0
    .kernarg_segment_align: 8
    .kernarg_segment_size: 8
    .language:       OpenCL C
    .language_version:
      - 2
      - 0
    .max_flat_workgroup_size: 1024
    .name:           _Z21device_test_warp_maskILj18EEvP10TestStatus
    .private_segment_fixed_size: 0
    .sgpr_count:     8
    .sgpr_spill_count: 0
    .symbol:         _Z21device_test_warp_maskILj18EEvP10TestStatus.kd
    .uniform_work_group_size: 1
    .uses_dynamic_stack: false
    .vgpr_count:     2
    .vgpr_spill_count: 0
    .wavefront_size: 32
  - .args:
      - .address_space:  global
        .offset:         0
        .size:           8
        .value_kind:     global_buffer
    .group_segment_fixed_size: 0
    .kernarg_segment_align: 8
    .kernarg_segment_size: 8
    .language:       OpenCL C
    .language_version:
      - 2
      - 0
    .max_flat_workgroup_size: 1024
    .name:           _Z21device_test_warp_maskILj19EEvP10TestStatus
    .private_segment_fixed_size: 0
    .sgpr_count:     8
    .sgpr_spill_count: 0
    .symbol:         _Z21device_test_warp_maskILj19EEvP10TestStatus.kd
    .uniform_work_group_size: 1
    .uses_dynamic_stack: false
    .vgpr_count:     2
    .vgpr_spill_count: 0
    .wavefront_size: 32
  - .args:
      - .address_space:  global
        .offset:         0
        .size:           8
        .value_kind:     global_buffer
    .group_segment_fixed_size: 0
    .kernarg_segment_align: 8
    .kernarg_segment_size: 8
    .language:       OpenCL C
    .language_version:
      - 2
      - 0
    .max_flat_workgroup_size: 1024
    .name:           _Z21device_test_warp_maskILj20EEvP10TestStatus
    .private_segment_fixed_size: 0
    .sgpr_count:     8
    .sgpr_spill_count: 0
    .symbol:         _Z21device_test_warp_maskILj20EEvP10TestStatus.kd
    .uniform_work_group_size: 1
    .uses_dynamic_stack: false
    .vgpr_count:     2
    .vgpr_spill_count: 0
    .wavefront_size: 32
  - .args:
      - .address_space:  global
        .offset:         0
        .size:           8
        .value_kind:     global_buffer
    .group_segment_fixed_size: 0
    .kernarg_segment_align: 8
    .kernarg_segment_size: 8
    .language:       OpenCL C
    .language_version:
      - 2
      - 0
    .max_flat_workgroup_size: 1024
    .name:           _Z21device_test_warp_maskILj21EEvP10TestStatus
    .private_segment_fixed_size: 0
    .sgpr_count:     8
    .sgpr_spill_count: 0
    .symbol:         _Z21device_test_warp_maskILj21EEvP10TestStatus.kd
    .uniform_work_group_size: 1
    .uses_dynamic_stack: false
    .vgpr_count:     2
    .vgpr_spill_count: 0
    .wavefront_size: 32
  - .args:
      - .address_space:  global
        .offset:         0
        .size:           8
        .value_kind:     global_buffer
    .group_segment_fixed_size: 0
    .kernarg_segment_align: 8
    .kernarg_segment_size: 8
    .language:       OpenCL C
    .language_version:
      - 2
      - 0
    .max_flat_workgroup_size: 1024
    .name:           _Z21device_test_warp_maskILj22EEvP10TestStatus
    .private_segment_fixed_size: 0
    .sgpr_count:     8
    .sgpr_spill_count: 0
    .symbol:         _Z21device_test_warp_maskILj22EEvP10TestStatus.kd
    .uniform_work_group_size: 1
    .uses_dynamic_stack: false
    .vgpr_count:     2
    .vgpr_spill_count: 0
    .wavefront_size: 32
  - .args:
      - .address_space:  global
        .offset:         0
        .size:           8
        .value_kind:     global_buffer
    .group_segment_fixed_size: 0
    .kernarg_segment_align: 8
    .kernarg_segment_size: 8
    .language:       OpenCL C
    .language_version:
      - 2
      - 0
    .max_flat_workgroup_size: 1024
    .name:           _Z21device_test_warp_maskILj23EEvP10TestStatus
    .private_segment_fixed_size: 0
    .sgpr_count:     8
    .sgpr_spill_count: 0
    .symbol:         _Z21device_test_warp_maskILj23EEvP10TestStatus.kd
    .uniform_work_group_size: 1
    .uses_dynamic_stack: false
    .vgpr_count:     2
    .vgpr_spill_count: 0
    .wavefront_size: 32
  - .args:
      - .address_space:  global
        .offset:         0
        .size:           8
        .value_kind:     global_buffer
    .group_segment_fixed_size: 0
    .kernarg_segment_align: 8
    .kernarg_segment_size: 8
    .language:       OpenCL C
    .language_version:
      - 2
      - 0
    .max_flat_workgroup_size: 1024
    .name:           _Z21device_test_warp_maskILj24EEvP10TestStatus
    .private_segment_fixed_size: 0
    .sgpr_count:     8
    .sgpr_spill_count: 0
    .symbol:         _Z21device_test_warp_maskILj24EEvP10TestStatus.kd
    .uniform_work_group_size: 1
    .uses_dynamic_stack: false
    .vgpr_count:     2
    .vgpr_spill_count: 0
    .wavefront_size: 32
  - .args:
      - .address_space:  global
        .offset:         0
        .size:           8
        .value_kind:     global_buffer
    .group_segment_fixed_size: 0
    .kernarg_segment_align: 8
    .kernarg_segment_size: 8
    .language:       OpenCL C
    .language_version:
      - 2
      - 0
    .max_flat_workgroup_size: 1024
    .name:           _Z21device_test_warp_maskILj25EEvP10TestStatus
    .private_segment_fixed_size: 0
    .sgpr_count:     8
    .sgpr_spill_count: 0
    .symbol:         _Z21device_test_warp_maskILj25EEvP10TestStatus.kd
    .uniform_work_group_size: 1
    .uses_dynamic_stack: false
    .vgpr_count:     2
    .vgpr_spill_count: 0
    .wavefront_size: 32
  - .args:
      - .address_space:  global
        .offset:         0
        .size:           8
        .value_kind:     global_buffer
    .group_segment_fixed_size: 0
    .kernarg_segment_align: 8
    .kernarg_segment_size: 8
    .language:       OpenCL C
    .language_version:
      - 2
      - 0
    .max_flat_workgroup_size: 1024
    .name:           _Z21device_test_warp_maskILj26EEvP10TestStatus
    .private_segment_fixed_size: 0
    .sgpr_count:     8
    .sgpr_spill_count: 0
    .symbol:         _Z21device_test_warp_maskILj26EEvP10TestStatus.kd
    .uniform_work_group_size: 1
    .uses_dynamic_stack: false
    .vgpr_count:     2
    .vgpr_spill_count: 0
    .wavefront_size: 32
  - .args:
      - .address_space:  global
        .offset:         0
        .size:           8
        .value_kind:     global_buffer
    .group_segment_fixed_size: 0
    .kernarg_segment_align: 8
    .kernarg_segment_size: 8
    .language:       OpenCL C
    .language_version:
      - 2
      - 0
    .max_flat_workgroup_size: 1024
    .name:           _Z21device_test_warp_maskILj27EEvP10TestStatus
    .private_segment_fixed_size: 0
    .sgpr_count:     8
    .sgpr_spill_count: 0
    .symbol:         _Z21device_test_warp_maskILj27EEvP10TestStatus.kd
    .uniform_work_group_size: 1
    .uses_dynamic_stack: false
    .vgpr_count:     2
    .vgpr_spill_count: 0
    .wavefront_size: 32
  - .args:
      - .address_space:  global
        .offset:         0
        .size:           8
        .value_kind:     global_buffer
    .group_segment_fixed_size: 0
    .kernarg_segment_align: 8
    .kernarg_segment_size: 8
    .language:       OpenCL C
    .language_version:
      - 2
      - 0
    .max_flat_workgroup_size: 1024
    .name:           _Z21device_test_warp_maskILj28EEvP10TestStatus
    .private_segment_fixed_size: 0
    .sgpr_count:     8
    .sgpr_spill_count: 0
    .symbol:         _Z21device_test_warp_maskILj28EEvP10TestStatus.kd
    .uniform_work_group_size: 1
    .uses_dynamic_stack: false
    .vgpr_count:     2
    .vgpr_spill_count: 0
    .wavefront_size: 32
  - .args:
      - .address_space:  global
        .offset:         0
        .size:           8
        .value_kind:     global_buffer
    .group_segment_fixed_size: 0
    .kernarg_segment_align: 8
    .kernarg_segment_size: 8
    .language:       OpenCL C
    .language_version:
      - 2
      - 0
    .max_flat_workgroup_size: 1024
    .name:           _Z21device_test_warp_maskILj29EEvP10TestStatus
    .private_segment_fixed_size: 0
    .sgpr_count:     8
    .sgpr_spill_count: 0
    .symbol:         _Z21device_test_warp_maskILj29EEvP10TestStatus.kd
    .uniform_work_group_size: 1
    .uses_dynamic_stack: false
    .vgpr_count:     2
    .vgpr_spill_count: 0
    .wavefront_size: 32
  - .args:
      - .address_space:  global
        .offset:         0
        .size:           8
        .value_kind:     global_buffer
    .group_segment_fixed_size: 0
    .kernarg_segment_align: 8
    .kernarg_segment_size: 8
    .language:       OpenCL C
    .language_version:
      - 2
      - 0
    .max_flat_workgroup_size: 1024
    .name:           _Z21device_test_warp_maskILj30EEvP10TestStatus
    .private_segment_fixed_size: 0
    .sgpr_count:     8
    .sgpr_spill_count: 0
    .symbol:         _Z21device_test_warp_maskILj30EEvP10TestStatus.kd
    .uniform_work_group_size: 1
    .uses_dynamic_stack: false
    .vgpr_count:     2
    .vgpr_spill_count: 0
    .wavefront_size: 32
  - .args:
      - .address_space:  global
        .offset:         0
        .size:           8
        .value_kind:     global_buffer
    .group_segment_fixed_size: 0
    .kernarg_segment_align: 8
    .kernarg_segment_size: 8
    .language:       OpenCL C
    .language_version:
      - 2
      - 0
    .max_flat_workgroup_size: 1024
    .name:           _Z21device_test_warp_maskILj31EEvP10TestStatus
    .private_segment_fixed_size: 0
    .sgpr_count:     8
    .sgpr_spill_count: 0
    .symbol:         _Z21device_test_warp_maskILj31EEvP10TestStatus.kd
    .uniform_work_group_size: 1
    .uses_dynamic_stack: false
    .vgpr_count:     2
    .vgpr_spill_count: 0
    .wavefront_size: 32
  - .args:
      - .address_space:  global
        .offset:         0
        .size:           8
        .value_kind:     global_buffer
    .group_segment_fixed_size: 0
    .kernarg_segment_align: 8
    .kernarg_segment_size: 8
    .language:       OpenCL C
    .language_version:
      - 2
      - 0
    .max_flat_workgroup_size: 1024
    .name:           _Z21device_test_warp_maskILj32EEvP10TestStatus
    .private_segment_fixed_size: 0
    .sgpr_count:     20
    .sgpr_spill_count: 0
    .symbol:         _Z21device_test_warp_maskILj32EEvP10TestStatus.kd
    .uniform_work_group_size: 1
    .uses_dynamic_stack: false
    .vgpr_count:     16
    .vgpr_spill_count: 0
    .wavefront_size: 32
  - .args:
      - .address_space:  global
        .offset:         0
        .size:           8
        .value_kind:     global_buffer
    .group_segment_fixed_size: 0
    .kernarg_segment_align: 8
    .kernarg_segment_size: 8
    .language:       OpenCL C
    .language_version:
      - 2
      - 0
    .max_flat_workgroup_size: 1024
    .name:           _Z21device_test_warp_maskILj33EEvP10TestStatus
    .private_segment_fixed_size: 0
    .sgpr_count:     2
    .sgpr_spill_count: 0
    .symbol:         _Z21device_test_warp_maskILj33EEvP10TestStatus.kd
    .uniform_work_group_size: 1
    .uses_dynamic_stack: false
    .vgpr_count:     2
    .vgpr_spill_count: 0
    .wavefront_size: 32
  - .args:
      - .address_space:  global
        .offset:         0
        .size:           8
        .value_kind:     global_buffer
    .group_segment_fixed_size: 0
    .kernarg_segment_align: 8
    .kernarg_segment_size: 8
    .language:       OpenCL C
    .language_version:
      - 2
      - 0
    .max_flat_workgroup_size: 1024
    .name:           _Z21device_test_warp_maskILj34EEvP10TestStatus
    .private_segment_fixed_size: 0
    .sgpr_count:     2
    .sgpr_spill_count: 0
    .symbol:         _Z21device_test_warp_maskILj34EEvP10TestStatus.kd
    .uniform_work_group_size: 1
    .uses_dynamic_stack: false
    .vgpr_count:     2
    .vgpr_spill_count: 0
    .wavefront_size: 32
  - .args:
      - .address_space:  global
        .offset:         0
        .size:           8
        .value_kind:     global_buffer
    .group_segment_fixed_size: 0
    .kernarg_segment_align: 8
    .kernarg_segment_size: 8
    .language:       OpenCL C
    .language_version:
      - 2
      - 0
    .max_flat_workgroup_size: 1024
    .name:           _Z21device_test_warp_maskILj35EEvP10TestStatus
    .private_segment_fixed_size: 0
    .sgpr_count:     2
    .sgpr_spill_count: 0
    .symbol:         _Z21device_test_warp_maskILj35EEvP10TestStatus.kd
    .uniform_work_group_size: 1
    .uses_dynamic_stack: false
    .vgpr_count:     2
    .vgpr_spill_count: 0
    .wavefront_size: 32
  - .args:
      - .address_space:  global
        .offset:         0
        .size:           8
        .value_kind:     global_buffer
    .group_segment_fixed_size: 0
    .kernarg_segment_align: 8
    .kernarg_segment_size: 8
    .language:       OpenCL C
    .language_version:
      - 2
      - 0
    .max_flat_workgroup_size: 1024
    .name:           _Z21device_test_warp_maskILj36EEvP10TestStatus
    .private_segment_fixed_size: 0
    .sgpr_count:     2
    .sgpr_spill_count: 0
    .symbol:         _Z21device_test_warp_maskILj36EEvP10TestStatus.kd
    .uniform_work_group_size: 1
    .uses_dynamic_stack: false
    .vgpr_count:     2
    .vgpr_spill_count: 0
    .wavefront_size: 32
  - .args:
      - .address_space:  global
        .offset:         0
        .size:           8
        .value_kind:     global_buffer
    .group_segment_fixed_size: 0
    .kernarg_segment_align: 8
    .kernarg_segment_size: 8
    .language:       OpenCL C
    .language_version:
      - 2
      - 0
    .max_flat_workgroup_size: 1024
    .name:           _Z21device_test_warp_maskILj37EEvP10TestStatus
    .private_segment_fixed_size: 0
    .sgpr_count:     2
    .sgpr_spill_count: 0
    .symbol:         _Z21device_test_warp_maskILj37EEvP10TestStatus.kd
    .uniform_work_group_size: 1
    .uses_dynamic_stack: false
    .vgpr_count:     2
    .vgpr_spill_count: 0
    .wavefront_size: 32
  - .args:
      - .address_space:  global
        .offset:         0
        .size:           8
        .value_kind:     global_buffer
    .group_segment_fixed_size: 0
    .kernarg_segment_align: 8
    .kernarg_segment_size: 8
    .language:       OpenCL C
    .language_version:
      - 2
      - 0
    .max_flat_workgroup_size: 1024
    .name:           _Z21device_test_warp_maskILj38EEvP10TestStatus
    .private_segment_fixed_size: 0
    .sgpr_count:     2
    .sgpr_spill_count: 0
    .symbol:         _Z21device_test_warp_maskILj38EEvP10TestStatus.kd
    .uniform_work_group_size: 1
    .uses_dynamic_stack: false
    .vgpr_count:     2
    .vgpr_spill_count: 0
    .wavefront_size: 32
  - .args:
      - .address_space:  global
        .offset:         0
        .size:           8
        .value_kind:     global_buffer
    .group_segment_fixed_size: 0
    .kernarg_segment_align: 8
    .kernarg_segment_size: 8
    .language:       OpenCL C
    .language_version:
      - 2
      - 0
    .max_flat_workgroup_size: 1024
    .name:           _Z21device_test_warp_maskILj39EEvP10TestStatus
    .private_segment_fixed_size: 0
    .sgpr_count:     2
    .sgpr_spill_count: 0
    .symbol:         _Z21device_test_warp_maskILj39EEvP10TestStatus.kd
    .uniform_work_group_size: 1
    .uses_dynamic_stack: false
    .vgpr_count:     2
    .vgpr_spill_count: 0
    .wavefront_size: 32
  - .args:
      - .address_space:  global
        .offset:         0
        .size:           8
        .value_kind:     global_buffer
    .group_segment_fixed_size: 0
    .kernarg_segment_align: 8
    .kernarg_segment_size: 8
    .language:       OpenCL C
    .language_version:
      - 2
      - 0
    .max_flat_workgroup_size: 1024
    .name:           _Z21device_test_warp_maskILj40EEvP10TestStatus
    .private_segment_fixed_size: 0
    .sgpr_count:     2
    .sgpr_spill_count: 0
    .symbol:         _Z21device_test_warp_maskILj40EEvP10TestStatus.kd
    .uniform_work_group_size: 1
    .uses_dynamic_stack: false
    .vgpr_count:     2
    .vgpr_spill_count: 0
    .wavefront_size: 32
  - .args:
      - .address_space:  global
        .offset:         0
        .size:           8
        .value_kind:     global_buffer
    .group_segment_fixed_size: 0
    .kernarg_segment_align: 8
    .kernarg_segment_size: 8
    .language:       OpenCL C
    .language_version:
      - 2
      - 0
    .max_flat_workgroup_size: 1024
    .name:           _Z21device_test_warp_maskILj41EEvP10TestStatus
    .private_segment_fixed_size: 0
    .sgpr_count:     2
    .sgpr_spill_count: 0
    .symbol:         _Z21device_test_warp_maskILj41EEvP10TestStatus.kd
    .uniform_work_group_size: 1
    .uses_dynamic_stack: false
    .vgpr_count:     2
    .vgpr_spill_count: 0
    .wavefront_size: 32
  - .args:
      - .address_space:  global
        .offset:         0
        .size:           8
        .value_kind:     global_buffer
    .group_segment_fixed_size: 0
    .kernarg_segment_align: 8
    .kernarg_segment_size: 8
    .language:       OpenCL C
    .language_version:
      - 2
      - 0
    .max_flat_workgroup_size: 1024
    .name:           _Z21device_test_warp_maskILj42EEvP10TestStatus
    .private_segment_fixed_size: 0
    .sgpr_count:     2
    .sgpr_spill_count: 0
    .symbol:         _Z21device_test_warp_maskILj42EEvP10TestStatus.kd
    .uniform_work_group_size: 1
    .uses_dynamic_stack: false
    .vgpr_count:     2
    .vgpr_spill_count: 0
    .wavefront_size: 32
  - .args:
      - .address_space:  global
        .offset:         0
        .size:           8
        .value_kind:     global_buffer
    .group_segment_fixed_size: 0
    .kernarg_segment_align: 8
    .kernarg_segment_size: 8
    .language:       OpenCL C
    .language_version:
      - 2
      - 0
    .max_flat_workgroup_size: 1024
    .name:           _Z21device_test_warp_maskILj43EEvP10TestStatus
    .private_segment_fixed_size: 0
    .sgpr_count:     2
    .sgpr_spill_count: 0
    .symbol:         _Z21device_test_warp_maskILj43EEvP10TestStatus.kd
    .uniform_work_group_size: 1
    .uses_dynamic_stack: false
    .vgpr_count:     2
    .vgpr_spill_count: 0
    .wavefront_size: 32
  - .args:
      - .address_space:  global
        .offset:         0
        .size:           8
        .value_kind:     global_buffer
    .group_segment_fixed_size: 0
    .kernarg_segment_align: 8
    .kernarg_segment_size: 8
    .language:       OpenCL C
    .language_version:
      - 2
      - 0
    .max_flat_workgroup_size: 1024
    .name:           _Z21device_test_warp_maskILj44EEvP10TestStatus
    .private_segment_fixed_size: 0
    .sgpr_count:     2
    .sgpr_spill_count: 0
    .symbol:         _Z21device_test_warp_maskILj44EEvP10TestStatus.kd
    .uniform_work_group_size: 1
    .uses_dynamic_stack: false
    .vgpr_count:     2
    .vgpr_spill_count: 0
    .wavefront_size: 32
  - .args:
      - .address_space:  global
        .offset:         0
        .size:           8
        .value_kind:     global_buffer
    .group_segment_fixed_size: 0
    .kernarg_segment_align: 8
    .kernarg_segment_size: 8
    .language:       OpenCL C
    .language_version:
      - 2
      - 0
    .max_flat_workgroup_size: 1024
    .name:           _Z21device_test_warp_maskILj45EEvP10TestStatus
    .private_segment_fixed_size: 0
    .sgpr_count:     2
    .sgpr_spill_count: 0
    .symbol:         _Z21device_test_warp_maskILj45EEvP10TestStatus.kd
    .uniform_work_group_size: 1
    .uses_dynamic_stack: false
    .vgpr_count:     2
    .vgpr_spill_count: 0
    .wavefront_size: 32
  - .args:
      - .address_space:  global
        .offset:         0
        .size:           8
        .value_kind:     global_buffer
    .group_segment_fixed_size: 0
    .kernarg_segment_align: 8
    .kernarg_segment_size: 8
    .language:       OpenCL C
    .language_version:
      - 2
      - 0
    .max_flat_workgroup_size: 1024
    .name:           _Z21device_test_warp_maskILj46EEvP10TestStatus
    .private_segment_fixed_size: 0
    .sgpr_count:     2
    .sgpr_spill_count: 0
    .symbol:         _Z21device_test_warp_maskILj46EEvP10TestStatus.kd
    .uniform_work_group_size: 1
    .uses_dynamic_stack: false
    .vgpr_count:     2
    .vgpr_spill_count: 0
    .wavefront_size: 32
  - .args:
      - .address_space:  global
        .offset:         0
        .size:           8
        .value_kind:     global_buffer
    .group_segment_fixed_size: 0
    .kernarg_segment_align: 8
    .kernarg_segment_size: 8
    .language:       OpenCL C
    .language_version:
      - 2
      - 0
    .max_flat_workgroup_size: 1024
    .name:           _Z21device_test_warp_maskILj47EEvP10TestStatus
    .private_segment_fixed_size: 0
    .sgpr_count:     2
    .sgpr_spill_count: 0
    .symbol:         _Z21device_test_warp_maskILj47EEvP10TestStatus.kd
    .uniform_work_group_size: 1
    .uses_dynamic_stack: false
    .vgpr_count:     2
    .vgpr_spill_count: 0
    .wavefront_size: 32
  - .args:
      - .address_space:  global
        .offset:         0
        .size:           8
        .value_kind:     global_buffer
    .group_segment_fixed_size: 0
    .kernarg_segment_align: 8
    .kernarg_segment_size: 8
    .language:       OpenCL C
    .language_version:
      - 2
      - 0
    .max_flat_workgroup_size: 1024
    .name:           _Z21device_test_warp_maskILj48EEvP10TestStatus
    .private_segment_fixed_size: 0
    .sgpr_count:     2
    .sgpr_spill_count: 0
    .symbol:         _Z21device_test_warp_maskILj48EEvP10TestStatus.kd
    .uniform_work_group_size: 1
    .uses_dynamic_stack: false
    .vgpr_count:     2
    .vgpr_spill_count: 0
    .wavefront_size: 32
  - .args:
      - .address_space:  global
        .offset:         0
        .size:           8
        .value_kind:     global_buffer
    .group_segment_fixed_size: 0
    .kernarg_segment_align: 8
    .kernarg_segment_size: 8
    .language:       OpenCL C
    .language_version:
      - 2
      - 0
    .max_flat_workgroup_size: 1024
    .name:           _Z21device_test_warp_maskILj49EEvP10TestStatus
    .private_segment_fixed_size: 0
    .sgpr_count:     2
    .sgpr_spill_count: 0
    .symbol:         _Z21device_test_warp_maskILj49EEvP10TestStatus.kd
    .uniform_work_group_size: 1
    .uses_dynamic_stack: false
    .vgpr_count:     2
    .vgpr_spill_count: 0
    .wavefront_size: 32
  - .args:
      - .address_space:  global
        .offset:         0
        .size:           8
        .value_kind:     global_buffer
    .group_segment_fixed_size: 0
    .kernarg_segment_align: 8
    .kernarg_segment_size: 8
    .language:       OpenCL C
    .language_version:
      - 2
      - 0
    .max_flat_workgroup_size: 1024
    .name:           _Z21device_test_warp_maskILj50EEvP10TestStatus
    .private_segment_fixed_size: 0
    .sgpr_count:     2
    .sgpr_spill_count: 0
    .symbol:         _Z21device_test_warp_maskILj50EEvP10TestStatus.kd
    .uniform_work_group_size: 1
    .uses_dynamic_stack: false
    .vgpr_count:     2
    .vgpr_spill_count: 0
    .wavefront_size: 32
  - .args:
      - .address_space:  global
        .offset:         0
        .size:           8
        .value_kind:     global_buffer
    .group_segment_fixed_size: 0
    .kernarg_segment_align: 8
    .kernarg_segment_size: 8
    .language:       OpenCL C
    .language_version:
      - 2
      - 0
    .max_flat_workgroup_size: 1024
    .name:           _Z21device_test_warp_maskILj51EEvP10TestStatus
    .private_segment_fixed_size: 0
    .sgpr_count:     2
    .sgpr_spill_count: 0
    .symbol:         _Z21device_test_warp_maskILj51EEvP10TestStatus.kd
    .uniform_work_group_size: 1
    .uses_dynamic_stack: false
    .vgpr_count:     2
    .vgpr_spill_count: 0
    .wavefront_size: 32
  - .args:
      - .address_space:  global
        .offset:         0
        .size:           8
        .value_kind:     global_buffer
    .group_segment_fixed_size: 0
    .kernarg_segment_align: 8
    .kernarg_segment_size: 8
    .language:       OpenCL C
    .language_version:
      - 2
      - 0
    .max_flat_workgroup_size: 1024
    .name:           _Z21device_test_warp_maskILj52EEvP10TestStatus
    .private_segment_fixed_size: 0
    .sgpr_count:     2
    .sgpr_spill_count: 0
    .symbol:         _Z21device_test_warp_maskILj52EEvP10TestStatus.kd
    .uniform_work_group_size: 1
    .uses_dynamic_stack: false
    .vgpr_count:     2
    .vgpr_spill_count: 0
    .wavefront_size: 32
  - .args:
      - .address_space:  global
        .offset:         0
        .size:           8
        .value_kind:     global_buffer
    .group_segment_fixed_size: 0
    .kernarg_segment_align: 8
    .kernarg_segment_size: 8
    .language:       OpenCL C
    .language_version:
      - 2
      - 0
    .max_flat_workgroup_size: 1024
    .name:           _Z21device_test_warp_maskILj53EEvP10TestStatus
    .private_segment_fixed_size: 0
    .sgpr_count:     2
    .sgpr_spill_count: 0
    .symbol:         _Z21device_test_warp_maskILj53EEvP10TestStatus.kd
    .uniform_work_group_size: 1
    .uses_dynamic_stack: false
    .vgpr_count:     2
    .vgpr_spill_count: 0
    .wavefront_size: 32
  - .args:
      - .address_space:  global
        .offset:         0
        .size:           8
        .value_kind:     global_buffer
    .group_segment_fixed_size: 0
    .kernarg_segment_align: 8
    .kernarg_segment_size: 8
    .language:       OpenCL C
    .language_version:
      - 2
      - 0
    .max_flat_workgroup_size: 1024
    .name:           _Z21device_test_warp_maskILj54EEvP10TestStatus
    .private_segment_fixed_size: 0
    .sgpr_count:     2
    .sgpr_spill_count: 0
    .symbol:         _Z21device_test_warp_maskILj54EEvP10TestStatus.kd
    .uniform_work_group_size: 1
    .uses_dynamic_stack: false
    .vgpr_count:     2
    .vgpr_spill_count: 0
    .wavefront_size: 32
  - .args:
      - .address_space:  global
        .offset:         0
        .size:           8
        .value_kind:     global_buffer
    .group_segment_fixed_size: 0
    .kernarg_segment_align: 8
    .kernarg_segment_size: 8
    .language:       OpenCL C
    .language_version:
      - 2
      - 0
    .max_flat_workgroup_size: 1024
    .name:           _Z21device_test_warp_maskILj55EEvP10TestStatus
    .private_segment_fixed_size: 0
    .sgpr_count:     2
    .sgpr_spill_count: 0
    .symbol:         _Z21device_test_warp_maskILj55EEvP10TestStatus.kd
    .uniform_work_group_size: 1
    .uses_dynamic_stack: false
    .vgpr_count:     2
    .vgpr_spill_count: 0
    .wavefront_size: 32
  - .args:
      - .address_space:  global
        .offset:         0
        .size:           8
        .value_kind:     global_buffer
    .group_segment_fixed_size: 0
    .kernarg_segment_align: 8
    .kernarg_segment_size: 8
    .language:       OpenCL C
    .language_version:
      - 2
      - 0
    .max_flat_workgroup_size: 1024
    .name:           _Z21device_test_warp_maskILj56EEvP10TestStatus
    .private_segment_fixed_size: 0
    .sgpr_count:     2
    .sgpr_spill_count: 0
    .symbol:         _Z21device_test_warp_maskILj56EEvP10TestStatus.kd
    .uniform_work_group_size: 1
    .uses_dynamic_stack: false
    .vgpr_count:     2
    .vgpr_spill_count: 0
    .wavefront_size: 32
  - .args:
      - .address_space:  global
        .offset:         0
        .size:           8
        .value_kind:     global_buffer
    .group_segment_fixed_size: 0
    .kernarg_segment_align: 8
    .kernarg_segment_size: 8
    .language:       OpenCL C
    .language_version:
      - 2
      - 0
    .max_flat_workgroup_size: 1024
    .name:           _Z21device_test_warp_maskILj57EEvP10TestStatus
    .private_segment_fixed_size: 0
    .sgpr_count:     2
    .sgpr_spill_count: 0
    .symbol:         _Z21device_test_warp_maskILj57EEvP10TestStatus.kd
    .uniform_work_group_size: 1
    .uses_dynamic_stack: false
    .vgpr_count:     2
    .vgpr_spill_count: 0
    .wavefront_size: 32
  - .args:
      - .address_space:  global
        .offset:         0
        .size:           8
        .value_kind:     global_buffer
    .group_segment_fixed_size: 0
    .kernarg_segment_align: 8
    .kernarg_segment_size: 8
    .language:       OpenCL C
    .language_version:
      - 2
      - 0
    .max_flat_workgroup_size: 1024
    .name:           _Z21device_test_warp_maskILj58EEvP10TestStatus
    .private_segment_fixed_size: 0
    .sgpr_count:     2
    .sgpr_spill_count: 0
    .symbol:         _Z21device_test_warp_maskILj58EEvP10TestStatus.kd
    .uniform_work_group_size: 1
    .uses_dynamic_stack: false
    .vgpr_count:     2
    .vgpr_spill_count: 0
    .wavefront_size: 32
  - .args:
      - .address_space:  global
        .offset:         0
        .size:           8
        .value_kind:     global_buffer
    .group_segment_fixed_size: 0
    .kernarg_segment_align: 8
    .kernarg_segment_size: 8
    .language:       OpenCL C
    .language_version:
      - 2
      - 0
    .max_flat_workgroup_size: 1024
    .name:           _Z21device_test_warp_maskILj59EEvP10TestStatus
    .private_segment_fixed_size: 0
    .sgpr_count:     2
    .sgpr_spill_count: 0
    .symbol:         _Z21device_test_warp_maskILj59EEvP10TestStatus.kd
    .uniform_work_group_size: 1
    .uses_dynamic_stack: false
    .vgpr_count:     2
    .vgpr_spill_count: 0
    .wavefront_size: 32
  - .args:
      - .address_space:  global
        .offset:         0
        .size:           8
        .value_kind:     global_buffer
    .group_segment_fixed_size: 0
    .kernarg_segment_align: 8
    .kernarg_segment_size: 8
    .language:       OpenCL C
    .language_version:
      - 2
      - 0
    .max_flat_workgroup_size: 1024
    .name:           _Z21device_test_warp_maskILj60EEvP10TestStatus
    .private_segment_fixed_size: 0
    .sgpr_count:     2
    .sgpr_spill_count: 0
    .symbol:         _Z21device_test_warp_maskILj60EEvP10TestStatus.kd
    .uniform_work_group_size: 1
    .uses_dynamic_stack: false
    .vgpr_count:     2
    .vgpr_spill_count: 0
    .wavefront_size: 32
  - .args:
      - .address_space:  global
        .offset:         0
        .size:           8
        .value_kind:     global_buffer
    .group_segment_fixed_size: 0
    .kernarg_segment_align: 8
    .kernarg_segment_size: 8
    .language:       OpenCL C
    .language_version:
      - 2
      - 0
    .max_flat_workgroup_size: 1024
    .name:           _Z21device_test_warp_maskILj61EEvP10TestStatus
    .private_segment_fixed_size: 0
    .sgpr_count:     2
    .sgpr_spill_count: 0
    .symbol:         _Z21device_test_warp_maskILj61EEvP10TestStatus.kd
    .uniform_work_group_size: 1
    .uses_dynamic_stack: false
    .vgpr_count:     2
    .vgpr_spill_count: 0
    .wavefront_size: 32
  - .args:
      - .address_space:  global
        .offset:         0
        .size:           8
        .value_kind:     global_buffer
    .group_segment_fixed_size: 0
    .kernarg_segment_align: 8
    .kernarg_segment_size: 8
    .language:       OpenCL C
    .language_version:
      - 2
      - 0
    .max_flat_workgroup_size: 1024
    .name:           _Z21device_test_warp_maskILj62EEvP10TestStatus
    .private_segment_fixed_size: 0
    .sgpr_count:     2
    .sgpr_spill_count: 0
    .symbol:         _Z21device_test_warp_maskILj62EEvP10TestStatus.kd
    .uniform_work_group_size: 1
    .uses_dynamic_stack: false
    .vgpr_count:     2
    .vgpr_spill_count: 0
    .wavefront_size: 32
  - .args:
      - .address_space:  global
        .offset:         0
        .size:           8
        .value_kind:     global_buffer
    .group_segment_fixed_size: 0
    .kernarg_segment_align: 8
    .kernarg_segment_size: 8
    .language:       OpenCL C
    .language_version:
      - 2
      - 0
    .max_flat_workgroup_size: 1024
    .name:           _Z21device_test_warp_maskILj63EEvP10TestStatus
    .private_segment_fixed_size: 0
    .sgpr_count:     2
    .sgpr_spill_count: 0
    .symbol:         _Z21device_test_warp_maskILj63EEvP10TestStatus.kd
    .uniform_work_group_size: 1
    .uses_dynamic_stack: false
    .vgpr_count:     2
    .vgpr_spill_count: 0
    .wavefront_size: 32
  - .args:
      - .address_space:  global
        .offset:         0
        .size:           8
        .value_kind:     global_buffer
    .group_segment_fixed_size: 0
    .kernarg_segment_align: 8
    .kernarg_segment_size: 8
    .language:       OpenCL C
    .language_version:
      - 2
      - 0
    .max_flat_workgroup_size: 1024
    .name:           _Z21device_test_warp_maskILj64EEvP10TestStatus
    .private_segment_fixed_size: 0
    .sgpr_count:     4
    .sgpr_spill_count: 0
    .symbol:         _Z21device_test_warp_maskILj64EEvP10TestStatus.kd
    .uniform_work_group_size: 1
    .uses_dynamic_stack: false
    .vgpr_count:     2
    .vgpr_spill_count: 0
    .wavefront_size: 32
amdhsa.target:   amdgcn-amd-amdhsa--gfx1250
amdhsa.version:
  - 1
  - 2
...

	.end_amdgpu_metadata
